;; amdgpu-corpus repo=ROCm/rocFFT kind=compiled arch=gfx950 opt=O3
	.text
	.amdgcn_target "amdgcn-amd-amdhsa--gfx950"
	.amdhsa_code_object_version 6
	.protected	bluestein_single_fwd_len1144_dim1_dp_op_CI_CI ; -- Begin function bluestein_single_fwd_len1144_dim1_dp_op_CI_CI
	.globl	bluestein_single_fwd_len1144_dim1_dp_op_CI_CI
	.p2align	8
	.type	bluestein_single_fwd_len1144_dim1_dp_op_CI_CI,@function
bluestein_single_fwd_len1144_dim1_dp_op_CI_CI: ; @bluestein_single_fwd_len1144_dim1_dp_op_CI_CI
; %bb.0:
	s_load_dwordx4 s[4:7], s[0:1], 0x28
	v_mul_u32_u24_e32 v1, 0x277, v0
	v_add_u32_sdwa v204, s2, v1 dst_sel:DWORD dst_unused:UNUSED_PAD src0_sel:DWORD src1_sel:WORD_1
	v_mov_b32_e32 v205, 0
	s_waitcnt lgkmcnt(0)
	v_cmp_gt_u64_e32 vcc, s[4:5], v[204:205]
	s_and_saveexec_b64 s[2:3], vcc
	s_cbranch_execz .LBB0_23
; %bb.1:
	s_load_dwordx2 s[14:15], s[0:1], 0x0
	s_load_dwordx2 s[12:13], s[0:1], 0x38
	s_movk_i32 s2, 0x68
	v_mul_lo_u16_sdwa v1, v1, s2 dst_sel:DWORD dst_unused:UNUSED_PAD src0_sel:WORD_1 src1_sel:DWORD
	v_sub_u16_e32 v205, v0, v1
	s_movk_i32 s2, 0x58
	v_cmp_gt_u16_e64 s[4:5], s2, v205
	v_lshlrev_b32_e32 v188, 4, v205
	s_and_saveexec_b64 s[2:3], s[4:5]
	s_cbranch_execz .LBB0_3
; %bb.2:
	s_load_dwordx2 s[8:9], s[0:1], 0x18
	v_mov_b32_e32 v0, s6
	v_mov_b32_e32 v1, s7
	;; [unrolled: 1-line block ×4, first 2 shown]
	s_waitcnt lgkmcnt(0)
	s_load_dwordx4 s[8:11], s[8:9], 0x0
	v_lshl_add_u64 v[40:41], s[14:15], 0, v[188:189]
	s_waitcnt lgkmcnt(0)
	v_mad_u64_u32 v[2:3], s[6:7], s10, v204, 0
	v_mad_u64_u32 v[4:5], s[6:7], s8, v205, 0
	v_mov_b32_e32 v6, v3
	v_mov_b32_e32 v8, v5
	v_mad_u64_u32 v[6:7], s[6:7], s11, v204, v[6:7]
	v_mov_b32_e32 v3, v6
	v_mad_u64_u32 v[6:7], s[6:7], s9, v205, v[8:9]
	v_mov_b32_e32 v5, v6
	v_lshl_add_u64 v[0:1], v[2:3], 4, v[0:1]
	v_lshl_add_u64 v[4:5], v[4:5], 4, v[0:1]
	v_mad_u64_u32 v[24:25], s[6:7], s8, v102, v[4:5]
	s_mul_i32 s6, s9, 0x580
	s_nop 0
	v_add_u32_e32 v25, s6, v25
	global_load_dwordx4 v[0:3], v[4:5], off
	v_mad_u64_u32 v[26:27], s[10:11], s8, v102, v[24:25]
	global_load_dwordx4 v[4:7], v188, s[14:15]
	global_load_dwordx4 v[8:11], v188, s[14:15] offset:1408
	v_add_u32_e32 v27, s6, v27
	v_mad_u64_u32 v[42:43], s[10:11], s8, v102, v[26:27]
	v_add_u32_e32 v43, s6, v43
	global_load_dwordx4 v[16:19], v[24:25], off
	global_load_dwordx4 v[12:15], v[26:27], off
	global_load_dwordx4 v[20:23], v188, s[14:15] offset:2816
	v_mad_u64_u32 v[44:45], s[10:11], s8, v102, v[42:43]
	s_movk_i32 s7, 0x1000
	v_add_u32_e32 v45, s6, v45
	v_add_co_u32_e32 v58, vcc, s7, v40
	v_mad_u64_u32 v[46:47], s[10:11], s8, v102, v[44:45]
	s_nop 0
	v_addc_co_u32_e32 v59, vcc, 0, v41, vcc
	global_load_dwordx4 v[28:31], v[42:43], off
	global_load_dwordx4 v[24:27], v[44:45], off
	global_load_dwordx4 v[36:39], v[58:59], off offset:128
	global_load_dwordx4 v[32:35], v[58:59], off offset:1536
	v_add_u32_e32 v47, s6, v47
	v_mad_u64_u32 v[60:61], s[10:11], s8, v102, v[46:47]
	v_add_u32_e32 v61, s6, v61
	s_movk_i32 s7, 0x2000
	global_load_dwordx4 v[42:45], v[46:47], off
	v_add_co_u32_e32 v74, vcc, s7, v40
	v_mad_u64_u32 v[62:63], s[10:11], s8, v102, v[60:61]
	global_load_dwordx4 v[46:49], v[60:61], off
	v_addc_co_u32_e32 v75, vcc, 0, v41, vcc
	global_load_dwordx4 v[50:53], v[58:59], off offset:2944
	global_load_dwordx4 v[54:57], v[74:75], off offset:256
	v_add_u32_e32 v63, s6, v63
	v_mad_u64_u32 v[76:77], s[10:11], s8, v102, v[62:63]
	v_add_u32_e32 v77, s6, v77
	global_load_dwordx4 v[58:61], v[62:63], off
	v_mad_u64_u32 v[78:79], s[10:11], s8, v102, v[76:77]
	global_load_dwordx4 v[62:65], v[76:77], off
	global_load_dwordx4 v[66:69], v[74:75], off offset:1664
	global_load_dwordx4 v[70:73], v[74:75], off offset:3072
	v_add_u32_e32 v79, s6, v79
	v_mad_u64_u32 v[90:91], s[10:11], s8, v102, v[78:79]
	s_movk_i32 s7, 0x3000
	v_add_u32_e32 v91, s6, v91
	global_load_dwordx4 v[74:77], v[78:79], off
	v_add_co_u32_e32 v98, vcc, s7, v40
	v_mad_u64_u32 v[100:101], s[10:11], s8, v102, v[90:91]
	s_nop 0
	v_addc_co_u32_e32 v99, vcc, 0, v41, vcc
	global_load_dwordx4 v[78:81], v[90:91], off
	global_load_dwordx4 v[82:85], v[98:99], off offset:384
	global_load_dwordx4 v[86:89], v[98:99], off offset:1792
	v_add_u32_e32 v101, s6, v101
	global_load_dwordx4 v[90:93], v[100:101], off
	global_load_dwordx4 v[94:97], v[98:99], off offset:3200
	v_mad_u64_u32 v[98:99], s[8:9], s8, v102, v[100:101]
	v_add_u32_e32 v99, s6, v99
	s_movk_i32 s6, 0x4000
	v_add_co_u32_e32 v40, vcc, s6, v40
	global_load_dwordx4 v[98:101], v[98:99], off
	s_nop 0
	v_addc_co_u32_e32 v41, vcc, 0, v41, vcc
	global_load_dwordx4 v[102:105], v[40:41], off offset:512
	s_waitcnt vmcnt(24)
	v_mul_f64 v[106:107], v[2:3], v[6:7]
	v_fmac_f64_e32 v[106:107], v[0:1], v[4:5]
	v_mul_f64 v[0:1], v[0:1], v[6:7]
	v_fma_f64 v[108:109], v[2:3], v[4:5], -v[0:1]
	s_waitcnt vmcnt(22)
	v_mul_f64 v[0:1], v[18:19], v[10:11]
	v_mul_f64 v[2:3], v[16:17], v[10:11]
	v_fmac_f64_e32 v[0:1], v[16:17], v[8:9]
	v_fma_f64 v[2:3], v[18:19], v[8:9], -v[2:3]
	ds_write_b128 v188, v[0:3] offset:1408
	s_waitcnt vmcnt(20)
	v_mul_f64 v[0:1], v[14:15], v[22:23]
	v_mul_f64 v[2:3], v[12:13], v[22:23]
	v_fmac_f64_e32 v[0:1], v[12:13], v[20:21]
	v_fma_f64 v[2:3], v[14:15], v[20:21], -v[2:3]
	ds_write_b128 v188, v[0:3] offset:2816
	ds_write_b128 v188, v[106:109]
	s_waitcnt vmcnt(17)
	v_mul_f64 v[0:1], v[30:31], v[38:39]
	v_mul_f64 v[2:3], v[28:29], v[38:39]
	v_fmac_f64_e32 v[0:1], v[28:29], v[36:37]
	v_fma_f64 v[2:3], v[30:31], v[36:37], -v[2:3]
	ds_write_b128 v188, v[0:3] offset:4224
	s_waitcnt vmcnt(16)
	v_mul_f64 v[0:1], v[26:27], v[34:35]
	v_mul_f64 v[2:3], v[24:25], v[34:35]
	v_fmac_f64_e32 v[0:1], v[24:25], v[32:33]
	v_fma_f64 v[2:3], v[26:27], v[32:33], -v[2:3]
	ds_write_b128 v188, v[0:3] offset:5632
	s_waitcnt vmcnt(13)
	v_mul_f64 v[0:1], v[44:45], v[52:53]
	v_mul_f64 v[2:3], v[42:43], v[52:53]
	v_fmac_f64_e32 v[0:1], v[42:43], v[50:51]
	v_fma_f64 v[2:3], v[44:45], v[50:51], -v[2:3]
	ds_write_b128 v188, v[0:3] offset:7040
	s_waitcnt vmcnt(12)
	v_mul_f64 v[0:1], v[48:49], v[56:57]
	v_mul_f64 v[2:3], v[46:47], v[56:57]
	v_fmac_f64_e32 v[0:1], v[46:47], v[54:55]
	v_fma_f64 v[2:3], v[48:49], v[54:55], -v[2:3]
	ds_write_b128 v188, v[0:3] offset:8448
	s_waitcnt vmcnt(9)
	v_mul_f64 v[0:1], v[60:61], v[68:69]
	v_mul_f64 v[2:3], v[58:59], v[68:69]
	v_fmac_f64_e32 v[0:1], v[58:59], v[66:67]
	v_fma_f64 v[2:3], v[60:61], v[66:67], -v[2:3]
	ds_write_b128 v188, v[0:3] offset:9856
	s_waitcnt vmcnt(8)
	v_mul_f64 v[0:1], v[64:65], v[72:73]
	v_mul_f64 v[2:3], v[62:63], v[72:73]
	v_fmac_f64_e32 v[0:1], v[62:63], v[70:71]
	v_fma_f64 v[2:3], v[64:65], v[70:71], -v[2:3]
	ds_write_b128 v188, v[0:3] offset:11264
	s_waitcnt vmcnt(5)
	v_mul_f64 v[0:1], v[76:77], v[84:85]
	v_mul_f64 v[2:3], v[74:75], v[84:85]
	v_fmac_f64_e32 v[0:1], v[74:75], v[82:83]
	v_fma_f64 v[2:3], v[76:77], v[82:83], -v[2:3]
	ds_write_b128 v188, v[0:3] offset:12672
	s_waitcnt vmcnt(4)
	v_mul_f64 v[0:1], v[80:81], v[88:89]
	v_mul_f64 v[2:3], v[78:79], v[88:89]
	v_fmac_f64_e32 v[0:1], v[78:79], v[86:87]
	v_fma_f64 v[2:3], v[80:81], v[86:87], -v[2:3]
	ds_write_b128 v188, v[0:3] offset:14080
	s_waitcnt vmcnt(2)
	v_mul_f64 v[0:1], v[92:93], v[96:97]
	v_mul_f64 v[2:3], v[90:91], v[96:97]
	v_fmac_f64_e32 v[0:1], v[90:91], v[94:95]
	v_fma_f64 v[2:3], v[92:93], v[94:95], -v[2:3]
	ds_write_b128 v188, v[0:3] offset:15488
	s_waitcnt vmcnt(0)
	v_mul_f64 v[0:1], v[100:101], v[104:105]
	v_mul_f64 v[2:3], v[98:99], v[104:105]
	v_fmac_f64_e32 v[0:1], v[98:99], v[102:103]
	v_fma_f64 v[2:3], v[100:101], v[102:103], -v[2:3]
	ds_write_b128 v188, v[0:3] offset:16896
.LBB0_3:
	s_or_b64 exec, exec, s[2:3]
	s_load_dwordx2 s[2:3], s[0:1], 0x20
	s_load_dwordx2 s[6:7], s[0:1], 0x8
	s_waitcnt lgkmcnt(0)
	s_barrier
	s_waitcnt lgkmcnt(0)
                                        ; implicit-def: $vgpr0_vgpr1
                                        ; implicit-def: $vgpr4_vgpr5
                                        ; implicit-def: $vgpr16_vgpr17
                                        ; implicit-def: $vgpr24_vgpr25
                                        ; implicit-def: $vgpr32_vgpr33
                                        ; implicit-def: $vgpr40_vgpr41
                                        ; implicit-def: $vgpr48_vgpr49
                                        ; implicit-def: $vgpr44_vgpr45
                                        ; implicit-def: $vgpr36_vgpr37
                                        ; implicit-def: $vgpr28_vgpr29
                                        ; implicit-def: $vgpr20_vgpr21
                                        ; implicit-def: $vgpr12_vgpr13
                                        ; implicit-def: $vgpr8_vgpr9
	s_and_saveexec_b64 s[0:1], s[4:5]
	s_cbranch_execz .LBB0_5
; %bb.4:
	ds_read_b128 v[0:3], v188
	ds_read_b128 v[8:11], v188 offset:1408
	ds_read_b128 v[4:7], v188 offset:2816
	;; [unrolled: 1-line block ×12, first 2 shown]
.LBB0_5:
	s_or_b64 exec, exec, s[0:1]
	s_mov_b32 s26, 0x4267c47c
	s_waitcnt lgkmcnt(0)
	v_add_f64 v[116:117], v[10:11], -v[50:51]
	s_mov_b32 s0, 0xe00740e9
	s_mov_b32 s27, 0xbfddbe06
	;; [unrolled: 1-line block ×3, first 2 shown]
	v_add_f64 v[78:79], v[48:49], v[8:9]
	v_add_f64 v[94:95], v[8:9], -v[48:49]
	s_mov_b32 s1, 0x3fec55a7
	v_mul_f64 v[72:73], v[116:117], s[26:27]
	s_mov_b32 s8, 0x1ea71119
	s_mov_b32 s23, 0xbfea55e2
	v_add_f64 v[130:131], v[6:7], -v[46:47]
	v_add_f64 v[82:83], v[50:51], v[10:11]
	v_mul_f64 v[74:75], v[94:95], s[26:27]
	v_fma_f64 v[52:53], s[0:1], v[78:79], v[72:73]
	s_mov_b32 s9, 0x3fe22d96
	v_add_f64 v[86:87], v[4:5], v[44:45]
	v_add_f64 v[118:119], v[4:5], -v[44:45]
	v_mul_f64 v[76:77], v[130:131], s[22:23]
	s_mov_b32 s28, 0x66966769
	v_add_f64 v[52:53], v[0:1], v[52:53]
	v_fma_f64 v[54:55], v[82:83], s[0:1], -v[74:75]
	v_add_f64 v[88:89], v[6:7], v[46:47]
	v_mul_f64 v[80:81], v[118:119], s[22:23]
	v_fma_f64 v[56:57], s[8:9], v[86:87], v[76:77]
	v_add_f64 v[142:143], v[14:15], -v[42:43]
	s_mov_b32 s18, 0xebaa3ed8
	s_mov_b32 s29, 0xbfefc445
	v_add_f64 v[54:55], v[2:3], v[54:55]
	v_add_f64 v[52:53], v[56:57], v[52:53]
	v_fma_f64 v[56:57], v[88:89], s[8:9], -v[80:81]
	s_mov_b32 s34, 0x2ef20147
	v_add_f64 v[92:93], v[40:41], v[12:13]
	v_add_f64 v[128:129], v[12:13], -v[40:41]
	s_mov_b32 s19, 0x3fbedb7d
	v_mul_f64 v[84:85], v[142:143], s[28:29]
	v_add_f64 v[54:55], v[56:57], v[54:55]
	s_mov_b32 s10, 0xb2365da1
	s_mov_b32 s35, 0xbfedeba7
	v_add_f64 v[104:105], v[42:43], v[14:15]
	v_mul_f64 v[90:91], v[128:129], s[28:29]
	v_fma_f64 v[56:57], s[18:19], v[92:93], v[84:85]
	v_add_f64 v[152:153], v[22:23], -v[38:39]
	s_mov_b32 s11, 0xbfd6b1d8
	v_add_f64 v[52:53], v[56:57], v[52:53]
	v_fma_f64 v[56:57], v[104:105], s[18:19], -v[90:91]
	v_add_f64 v[110:111], v[36:37], v[20:21]
	v_add_f64 v[146:147], v[20:21], -v[36:37]
	v_mul_f64 v[106:107], v[152:153], s[34:35]
	s_mov_b32 s36, 0x24c2f84
	v_add_f64 v[54:55], v[56:57], v[54:55]
	v_add_f64 v[112:113], v[38:39], v[22:23]
	v_mul_f64 v[108:109], v[146:147], s[34:35]
	v_fma_f64 v[56:57], s[10:11], v[110:111], v[106:107]
	s_mov_b32 s24, 0xd0032e0c
	s_mov_b32 s37, 0x3fe5384d
	v_add_f64 v[166:167], v[18:19], -v[34:35]
	s_mov_b32 s39, 0xbfe5384d
	s_mov_b32 s38, s36
	;; [unrolled: 1-line block ×3, first 2 shown]
	v_add_f64 v[52:53], v[56:57], v[52:53]
	v_fma_f64 v[56:57], v[112:113], s[10:11], -v[108:109]
	s_mov_b32 s25, 0xbfe7f3cc
	v_add_f64 v[124:125], v[16:17], v[32:33]
	v_add_f64 v[158:159], v[16:17], -v[32:33]
	v_mul_f64 v[114:115], v[166:167], s[38:39]
	s_mov_b32 s20, 0x93053d00
	s_mov_b32 s31, 0xbfcea1e5
	v_add_f64 v[54:55], v[56:57], v[54:55]
	v_add_f64 v[126:127], v[18:19], v[34:35]
	v_mul_f64 v[120:121], v[158:159], s[38:39]
	v_fma_f64 v[56:57], s[24:25], v[124:125], v[114:115]
	v_add_f64 v[172:173], v[30:31], -v[26:27]
	s_mov_b32 s21, 0xbfef11f4
	v_add_f64 v[52:53], v[56:57], v[52:53]
	v_fma_f64 v[56:57], v[126:127], s[24:25], -v[120:121]
	v_add_f64 v[134:135], v[24:25], v[28:29]
	v_mul_f64 v[122:123], v[172:173], s[30:31]
	v_add_f64 v[170:171], v[28:29], -v[24:25]
	v_add_f64 v[54:55], v[56:57], v[54:55]
	v_fma_f64 v[56:57], s[20:21], v[134:135], v[122:123]
	v_add_f64 v[136:137], v[26:27], v[30:31]
	v_mul_f64 v[132:133], v[170:171], s[30:31]
	v_add_f64 v[96:97], v[56:57], v[52:53]
	v_fma_f64 v[52:53], v[136:137], s[20:21], -v[132:133]
	v_mul_f64 v[138:139], v[116:117], s[22:23]
	v_add_f64 v[98:99], v[52:53], v[54:55]
	v_fma_f64 v[52:53], s[8:9], v[78:79], v[138:139]
	v_mul_f64 v[140:141], v[130:131], s[34:35]
	v_add_f64 v[52:53], v[0:1], v[52:53]
	v_fma_f64 v[54:55], s[10:11], v[86:87], v[140:141]
	v_mul_f64 v[150:151], v[94:95], s[22:23]
	v_add_f64 v[52:53], v[54:55], v[52:53]
	v_fma_f64 v[54:55], v[82:83], s[8:9], -v[150:151]
	v_mul_f64 v[156:157], v[118:119], s[34:35]
	v_add_f64 v[54:55], v[2:3], v[54:55]
	v_fma_f64 v[56:57], v[88:89], s[10:11], -v[156:157]
	v_mul_f64 v[144:145], v[142:143], s[30:31]
	v_add_f64 v[54:55], v[56:57], v[54:55]
	v_fma_f64 v[56:57], s[20:21], v[92:93], v[144:145]
	v_mul_f64 v[160:161], v[128:129], s[30:31]
	v_add_f64 v[52:53], v[56:57], v[52:53]
	v_fma_f64 v[56:57], v[104:105], s[20:21], -v[160:161]
	v_mul_f64 v[148:149], v[152:153], s[36:37]
	v_add_f64 v[54:55], v[56:57], v[54:55]
	v_fma_f64 v[56:57], s[24:25], v[110:111], v[148:149]
	v_mul_f64 v[164:165], v[146:147], s[36:37]
	s_mov_b32 s43, 0x3fefc445
	s_mov_b32 s42, s28
	v_add_f64 v[52:53], v[56:57], v[52:53]
	v_fma_f64 v[56:57], v[112:113], s[24:25], -v[164:165]
	v_mul_f64 v[154:155], v[166:167], s[42:43]
	v_add_f64 v[54:55], v[56:57], v[54:55]
	v_fma_f64 v[56:57], s[18:19], v[124:125], v[154:155]
	v_mul_f64 v[168:169], v[158:159], s[42:43]
	s_mov_b32 s41, 0x3fddbe06
	s_mov_b32 s40, s26
	v_add_f64 v[52:53], v[56:57], v[52:53]
	v_fma_f64 v[56:57], v[126:127], s[18:19], -v[168:169]
	v_mul_f64 v[162:163], v[172:173], s[40:41]
	v_add_f64 v[54:55], v[56:57], v[54:55]
	v_fma_f64 v[56:57], s[0:1], v[134:135], v[162:163]
	v_mul_f64 v[174:175], v[170:171], s[40:41]
	v_add_f64 v[100:101], v[56:57], v[52:53]
	v_fma_f64 v[52:53], v[136:137], s[0:1], -v[174:175]
	v_add_f64 v[102:103], v[52:53], v[54:55]
	v_mul_lo_u16_e32 v189, 13, v205
	s_barrier
	s_and_saveexec_b64 s[16:17], s[4:5]
	s_cbranch_execz .LBB0_7
; %bb.6:
	v_mul_f64 v[58:59], v[82:83], s[20:21]
	s_mov_b32 s47, 0x3fcea1e5
	s_mov_b32 s46, s30
	v_mul_f64 v[56:57], v[88:89], s[0:1]
	v_fma_f64 v[52:53], s[46:47], v[94:95], v[58:59]
	v_add_f64 v[52:53], v[2:3], v[52:53]
	v_fma_f64 v[54:55], s[26:27], v[118:119], v[56:57]
	v_mul_f64 v[60:61], v[104:105], s[24:25]
	v_add_f64 v[52:53], v[54:55], v[52:53]
	v_fma_f64 v[54:55], s[36:37], v[128:129], v[60:61]
	v_mul_f64 v[62:63], v[112:113], s[8:9]
	v_add_f64 v[52:53], v[54:55], v[52:53]
	v_fma_f64 v[54:55], s[22:23], v[146:147], v[62:63]
	s_mov_b32 s45, 0x3fedeba7
	s_mov_b32 s44, s34
	v_mul_f64 v[64:65], v[126:127], s[10:11]
	v_add_f64 v[52:53], v[54:55], v[52:53]
	v_fma_f64 v[54:55], s[44:45], v[158:159], v[64:65]
	v_mul_f64 v[66:67], v[116:117], s[30:31]
	v_add_f64 v[52:53], v[54:55], v[52:53]
	v_fma_f64 v[54:55], s[20:21], v[78:79], v[66:67]
	;; [unrolled: 3-line block ×3, first 2 shown]
	v_fmac_f64_e32 v[58:59], s[30:31], v[94:95]
	v_add_f64 v[54:55], v[70:71], v[54:55]
	v_mul_f64 v[70:71], v[142:143], s[38:39]
	v_fmac_f64_e32 v[56:57], s[40:41], v[118:119]
	v_add_f64 v[58:59], v[2:3], v[58:59]
	v_fma_f64 v[176:177], s[24:25], v[92:93], v[70:71]
	s_mov_b32 s49, 0x3fea55e2
	s_mov_b32 s48, s22
	v_add_f64 v[56:57], v[56:57], v[58:59]
	v_fmac_f64_e32 v[60:61], s[38:39], v[128:129]
	v_add_f64 v[54:55], v[176:177], v[54:55]
	v_mul_f64 v[176:177], v[152:153], s[48:49]
	v_add_f64 v[56:57], v[60:61], v[56:57]
	v_fma_f64 v[60:61], v[78:79], s[20:21], -v[66:67]
	v_fma_f64 v[178:179], s[8:9], v[110:111], v[176:177]
	v_fma_f64 v[58:59], v[86:87], s[0:1], -v[68:69]
	v_add_f64 v[60:61], v[0:1], v[60:61]
	v_add_f64 v[54:55], v[178:179], v[54:55]
	v_mul_f64 v[178:179], v[166:167], s[34:35]
	v_fmac_f64_e32 v[62:63], s[48:49], v[146:147]
	v_add_f64 v[58:59], v[58:59], v[60:61]
	v_fma_f64 v[60:61], v[92:93], s[24:25], -v[70:71]
	v_fma_f64 v[180:181], s[10:11], v[124:125], v[178:179]
	v_mul_f64 v[182:183], v[136:137], s[18:19]
	v_add_f64 v[56:57], v[62:63], v[56:57]
	v_fmac_f64_e32 v[64:65], s[34:35], v[158:159]
	v_add_f64 v[58:59], v[60:61], v[58:59]
	v_fma_f64 v[60:61], v[110:111], s[8:9], -v[176:177]
	v_add_f64 v[180:181], v[180:181], v[54:55]
	v_fma_f64 v[54:55], s[28:29], v[170:171], v[182:183]
	v_mul_f64 v[184:185], v[172:173], s[42:43]
	v_add_f64 v[56:57], v[64:65], v[56:57]
	v_add_f64 v[58:59], v[60:61], v[58:59]
	v_fma_f64 v[60:61], v[124:125], s[10:11], -v[178:179]
	v_fmac_f64_e32 v[182:183], s[42:43], v[170:171]
	v_add_f64 v[60:61], v[60:61], v[58:59]
	v_add_f64 v[58:59], v[182:183], v[56:57]
	v_fma_f64 v[56:57], v[134:135], s[18:19], -v[184:185]
	v_mul_f64 v[64:65], v[82:83], s[24:25]
	v_add_f64 v[56:57], v[56:57], v[60:61]
	v_fma_f64 v[60:61], s[36:37], v[94:95], v[64:65]
	v_mul_f64 v[66:67], v[88:89], s[18:19]
	v_add_f64 v[60:61], v[2:3], v[60:61]
	v_fma_f64 v[62:63], s[28:29], v[118:119], v[66:67]
	;; [unrolled: 3-line block ×5, first 2 shown]
	v_add_f64 v[60:61], v[62:63], v[60:61]
	v_fma_f64 v[62:63], s[26:27], v[158:159], v[176:177]
	v_mul_f64 v[178:179], v[116:117], s[38:39]
	v_add_f64 v[52:53], v[52:53], v[180:181]
	v_add_f64 v[60:61], v[62:63], v[60:61]
	v_fma_f64 v[62:63], s[24:25], v[78:79], v[178:179]
	v_mul_f64 v[180:181], v[130:131], s[42:43]
	v_add_f64 v[62:63], v[0:1], v[62:63]
	v_fma_f64 v[182:183], s[18:19], v[86:87], v[180:181]
	v_fmac_f64_e32 v[64:65], s[38:39], v[94:95]
	v_add_f64 v[62:63], v[182:183], v[62:63]
	v_mul_f64 v[182:183], v[142:143], s[22:23]
	v_fmac_f64_e32 v[66:67], s[42:43], v[118:119]
	v_add_f64 v[64:65], v[2:3], v[64:65]
	v_fma_f64 v[184:185], s[8:9], v[92:93], v[182:183]
	v_add_f64 v[64:65], v[66:67], v[64:65]
	v_fmac_f64_e32 v[68:69], s[22:23], v[128:129]
	v_add_f64 v[62:63], v[184:185], v[62:63]
	v_mul_f64 v[184:185], v[152:153], s[46:47]
	v_add_f64 v[64:65], v[68:69], v[64:65]
	v_fma_f64 v[68:69], v[78:79], s[24:25], -v[178:179]
	v_fma_f64 v[186:187], s[20:21], v[110:111], v[184:185]
	v_fma_f64 v[66:67], v[86:87], s[18:19], -v[180:181]
	v_add_f64 v[68:69], v[0:1], v[68:69]
	v_add_f64 v[62:63], v[186:187], v[62:63]
	v_mul_f64 v[186:187], v[166:167], s[40:41]
	v_fmac_f64_e32 v[70:71], s[46:47], v[146:147]
	v_add_f64 v[66:67], v[66:67], v[68:69]
	v_fma_f64 v[68:69], v[92:93], s[8:9], -v[182:183]
	v_fma_f64 v[190:191], s[0:1], v[124:125], v[186:187]
	v_mul_f64 v[192:193], v[136:137], s[10:11]
	v_add_f64 v[64:65], v[70:71], v[64:65]
	v_fmac_f64_e32 v[176:177], s[40:41], v[158:159]
	v_add_f64 v[66:67], v[68:69], v[66:67]
	v_fma_f64 v[68:69], v[110:111], s[20:21], -v[184:185]
	v_add_f64 v[190:191], v[190:191], v[62:63]
	v_fma_f64 v[62:63], s[44:45], v[170:171], v[192:193]
	v_mul_f64 v[194:195], v[172:173], s[34:35]
	v_add_f64 v[64:65], v[176:177], v[64:65]
	v_add_f64 v[66:67], v[68:69], v[66:67]
	v_fma_f64 v[68:69], v[124:125], s[0:1], -v[186:187]
	v_fmac_f64_e32 v[192:193], s[34:35], v[170:171]
	v_add_f64 v[68:69], v[68:69], v[66:67]
	v_add_f64 v[66:67], v[192:193], v[64:65]
	v_fma_f64 v[64:65], v[134:135], s[10:11], -v[194:195]
	v_mul_f64 v[176:177], v[82:83], s[10:11]
	v_add_f64 v[64:65], v[64:65], v[68:69]
	v_fma_f64 v[68:69], s[44:45], v[94:95], v[176:177]
	v_mul_f64 v[178:179], v[88:89], s[24:25]
	v_add_f64 v[68:69], v[2:3], v[68:69]
	v_fma_f64 v[70:71], s[38:39], v[118:119], v[178:179]
	;; [unrolled: 3-line block ×5, first 2 shown]
	v_add_f64 v[68:69], v[70:71], v[68:69]
	v_fma_f64 v[70:71], s[30:31], v[158:159], v[184:185]
	v_mul_f64 v[186:187], v[116:117], s[34:35]
	v_add_f64 v[60:61], v[60:61], v[190:191]
	v_add_f64 v[68:69], v[70:71], v[68:69]
	v_fma_f64 v[70:71], s[10:11], v[78:79], v[186:187]
	v_mul_f64 v[190:191], v[130:131], s[36:37]
	v_add_f64 v[70:71], v[0:1], v[70:71]
	v_fma_f64 v[192:193], s[24:25], v[86:87], v[190:191]
	v_fmac_f64_e32 v[176:177], s[34:35], v[94:95]
	v_add_f64 v[70:71], v[192:193], v[70:71]
	v_mul_f64 v[192:193], v[142:143], s[40:41]
	v_fmac_f64_e32 v[178:179], s[36:37], v[118:119]
	v_add_f64 v[176:177], v[2:3], v[176:177]
	v_fma_f64 v[194:195], s[0:1], v[92:93], v[192:193]
	v_add_f64 v[176:177], v[178:179], v[176:177]
	v_fmac_f64_e32 v[180:181], s[40:41], v[128:129]
	v_add_f64 v[70:71], v[194:195], v[70:71]
	v_mul_f64 v[194:195], v[152:153], s[28:29]
	v_add_f64 v[176:177], v[180:181], v[176:177]
	v_fma_f64 v[180:181], v[78:79], s[10:11], -v[186:187]
	v_fma_f64 v[196:197], s[18:19], v[110:111], v[194:195]
	v_fma_f64 v[178:179], v[86:87], s[24:25], -v[190:191]
	v_add_f64 v[180:181], v[0:1], v[180:181]
	v_add_f64 v[70:71], v[196:197], v[70:71]
	v_mul_f64 v[196:197], v[166:167], s[46:47]
	v_fmac_f64_e32 v[182:183], s[28:29], v[146:147]
	v_add_f64 v[178:179], v[178:179], v[180:181]
	v_fma_f64 v[180:181], v[92:93], s[0:1], -v[192:193]
	v_fma_f64 v[198:199], s[20:21], v[124:125], v[196:197]
	v_mul_f64 v[200:201], v[136:137], s[8:9]
	v_add_f64 v[176:177], v[182:183], v[176:177]
	v_fmac_f64_e32 v[184:185], s[46:47], v[158:159]
	v_add_f64 v[178:179], v[180:181], v[178:179]
	v_fma_f64 v[180:181], v[110:111], s[18:19], -v[194:195]
	v_add_f64 v[198:199], v[198:199], v[70:71]
	v_fma_f64 v[70:71], s[22:23], v[170:171], v[200:201]
	v_mul_f64 v[202:203], v[172:173], s[48:49]
	v_add_f64 v[176:177], v[184:185], v[176:177]
	v_add_f64 v[178:179], v[180:181], v[178:179]
	v_fma_f64 v[180:181], v[124:125], s[20:21], -v[196:197]
	v_fmac_f64_e32 v[200:201], s[48:49], v[170:171]
	v_add_f64 v[180:181], v[180:181], v[178:179]
	v_add_f64 v[178:179], v[200:201], v[176:177]
	v_fma_f64 v[176:177], v[134:135], s[8:9], -v[202:203]
	v_mul_f64 v[184:185], v[82:83], s[18:19]
	v_add_f64 v[176:177], v[176:177], v[180:181]
	v_fma_f64 v[180:181], s[42:43], v[94:95], v[184:185]
	v_mul_f64 v[186:187], v[88:89], s[20:21]
	v_add_f64 v[180:181], v[2:3], v[180:181]
	v_fma_f64 v[182:183], s[46:47], v[118:119], v[186:187]
	;; [unrolled: 3-line block ×5, first 2 shown]
	v_mul_f64 v[116:117], v[116:117], s[28:29]
	v_add_f64 v[180:181], v[182:183], v[180:181]
	v_mul_f64 v[130:131], v[130:131], s[30:31]
	v_fma_f64 v[182:183], s[18:19], v[78:79], v[116:117]
	v_fma_f64 v[116:117], v[78:79], s[18:19], -v[116:117]
	v_add_f64 v[182:183], v[0:1], v[182:183]
	v_fma_f64 v[196:197], s[20:21], v[86:87], v[130:131]
	v_mul_f64 v[142:143], v[142:143], s[44:45]
	v_fmac_f64_e32 v[186:187], s[30:31], v[118:119]
	v_fma_f64 v[118:119], v[86:87], s[20:21], -v[130:131]
	v_add_f64 v[116:117], v[0:1], v[116:117]
	v_add_f64 v[182:183], v[196:197], v[182:183]
	v_fma_f64 v[196:197], s[10:11], v[92:93], v[142:143]
	v_mul_f64 v[152:153], v[152:153], s[40:41]
	v_add_f64 v[116:117], v[118:119], v[116:117]
	v_fma_f64 v[118:119], v[92:93], s[10:11], -v[142:143]
	v_add_f64 v[182:183], v[196:197], v[182:183]
	v_fma_f64 v[196:197], s[0:1], v[110:111], v[152:153]
	v_add_f64 v[116:117], v[118:119], v[116:117]
	v_fma_f64 v[118:119], v[110:111], s[0:1], -v[152:153]
	v_mul_f64 v[152:153], v[82:83], s[8:9]
	v_fmac_f64_e32 v[192:193], s[40:41], v[146:147]
	v_mul_f64 v[146:147], v[88:89], s[10:11]
	v_add_f64 v[150:151], v[150:151], v[152:153]
	v_mul_f64 v[142:143], v[104:105], s[20:21]
	v_add_f64 v[146:147], v[156:157], v[146:147]
	v_add_f64 v[150:151], v[2:3], v[150:151]
	;; [unrolled: 1-line block ×5, first 2 shown]
	v_mul_f64 v[146:147], v[78:79], s[0:1]
	v_mul_f64 v[82:83], v[82:83], s[0:1]
	;; [unrolled: 1-line block ×3, first 2 shown]
	v_fmac_f64_e32 v[184:185], s[28:29], v[94:95]
	v_add_f64 v[78:79], v[78:79], -v[138:139]
	v_add_f64 v[74:75], v[74:75], v[82:83]
	v_add_f64 v[72:73], v[146:147], -v[72:73]
	v_add_f64 v[94:95], v[2:3], v[184:185]
	v_add_f64 v[78:79], v[0:1], v[78:79]
	;; [unrolled: 1-line block ×6, first 2 shown]
	v_fmac_f64_e32 v[190:191], s[44:45], v[128:129]
	v_add_f64 v[94:95], v[186:187], v[94:95]
	v_add_f64 v[2:3], v[6:7], v[2:3]
	;; [unrolled: 1-line block ×4, first 2 shown]
	v_fma_f64 v[68:69], s[8:9], v[134:135], v[202:203]
	v_mul_f64 v[166:167], v[166:167], s[22:23]
	v_add_f64 v[94:95], v[190:191], v[94:95]
	v_mul_f64 v[130:131], v[112:113], s[24:25]
	v_add_f64 v[2:3], v[14:15], v[2:3]
	v_add_f64 v[0:1], v[12:13], v[0:1]
	;; [unrolled: 1-line block ×4, first 2 shown]
	v_fma_f64 v[196:197], s[8:9], v[124:125], v[166:167]
	v_mul_f64 v[198:199], v[136:137], s[24:25]
	v_fmac_f64_e32 v[194:195], s[22:23], v[158:159]
	v_add_f64 v[94:95], v[192:193], v[94:95]
	v_add_f64 v[130:131], v[164:165], v[130:131]
	;; [unrolled: 1-line block ×5, first 2 shown]
	v_fma_f64 v[182:183], s[36:37], v[170:171], v[198:199]
	v_mul_f64 v[172:173], v[172:173], s[38:39]
	v_fmac_f64_e32 v[198:199], s[38:39], v[170:171]
	v_add_f64 v[94:95], v[194:195], v[94:95]
	v_add_f64 v[116:117], v[118:119], v[116:117]
	v_fma_f64 v[118:119], v[124:125], s[8:9], -v[166:167]
	v_add_f64 v[130:131], v[130:131], v[142:143]
	v_mul_f64 v[142:143], v[86:87], s[8:9]
	v_mul_f64 v[86:87], v[86:87], s[10:11]
	;; [unrolled: 1-line block ×3, first 2 shown]
	v_add_f64 v[2:3], v[18:19], v[2:3]
	v_add_f64 v[0:1], v[16:17], v[0:1]
	;; [unrolled: 1-line block ×4, first 2 shown]
	v_fma_f64 v[94:95], v[134:135], s[24:25], -v[172:173]
	v_mul_f64 v[128:129], v[126:127], s[18:19]
	v_mul_f64 v[150:151], v[88:89], s[8:9]
	v_add_f64 v[148:149], v[152:153], -v[148:149]
	v_mul_f64 v[152:153], v[92:93], s[18:19]
	v_mul_f64 v[92:93], v[92:93], s[20:21]
	v_add_f64 v[86:87], v[86:87], -v[140:141]
	v_add_f64 v[2:3], v[30:31], v[2:3]
	v_add_f64 v[0:1], v[28:29], v[0:1]
	;; [unrolled: 1-line block ×3, first 2 shown]
	v_mul_f64 v[94:95], v[136:137], s[0:1]
	v_add_f64 v[128:129], v[168:169], v[128:129]
	v_mul_f64 v[104:105], v[104:105], s[18:19]
	v_add_f64 v[92:93], v[92:93], -v[144:145]
	v_add_f64 v[78:79], v[86:87], v[78:79]
	v_add_f64 v[80:81], v[80:81], v[150:151]
	;; [unrolled: 1-line block ×6, first 2 shown]
	v_mul_f64 v[130:131], v[124:125], s[18:19]
	v_mul_f64 v[112:113], v[112:113], s[10:11]
	v_add_f64 v[78:79], v[92:93], v[78:79]
	v_add_f64 v[90:91], v[90:91], v[104:105]
	;; [unrolled: 1-line block ×3, first 2 shown]
	v_add_f64 v[76:77], v[142:143], -v[76:77]
	v_add_f64 v[2:3], v[34:35], v[2:3]
	v_add_f64 v[0:1], v[32:33], v[0:1]
	v_mul_f64 v[128:129], v[134:135], s[0:1]
	v_add_f64 v[130:131], v[130:131], -v[154:155]
	v_mul_f64 v[110:111], v[110:111], s[10:11]
	v_mul_f64 v[126:127], v[126:127], s[24:25]
	v_add_f64 v[88:89], v[94:95], v[88:89]
	v_add_f64 v[78:79], v[148:149], v[78:79]
	;; [unrolled: 1-line block ×4, first 2 shown]
	v_add_f64 v[84:85], v[152:153], -v[84:85]
	v_add_f64 v[72:73], v[76:77], v[72:73]
	v_add_f64 v[2:3], v[38:39], v[2:3]
	;; [unrolled: 1-line block ×3, first 2 shown]
	v_add_f64 v[128:129], v[128:129], -v[162:163]
	v_mul_f64 v[124:125], v[124:125], s[24:25]
	v_mul_f64 v[136:137], v[136:137], s[20:21]
	v_add_f64 v[78:79], v[130:131], v[78:79]
	v_add_f64 v[92:93], v[120:121], v[126:127]
	;; [unrolled: 1-line block ×3, first 2 shown]
	v_add_f64 v[82:83], v[110:111], -v[106:107]
	v_add_f64 v[72:73], v[84:85], v[72:73]
	v_add_f64 v[2:3], v[42:43], v[2:3]
	;; [unrolled: 1-line block ×4, first 2 shown]
	v_fma_f64 v[180:181], s[24:25], v[134:135], v[172:173]
	v_mul_f64 v[134:135], v[134:135], s[20:21]
	v_add_f64 v[86:87], v[128:129], v[78:79]
	v_add_f64 v[78:79], v[132:133], v[136:137]
	;; [unrolled: 1-line block ×3, first 2 shown]
	v_add_f64 v[80:81], v[124:125], -v[114:115]
	v_add_f64 v[72:73], v[82:83], v[72:73]
	v_add_f64 v[2:3], v[46:47], v[2:3]
	v_add_f64 v[0:1], v[44:45], v[0:1]
	v_add_f64 v[74:75], v[78:79], v[74:75]
	v_add_f64 v[78:79], v[134:135], -v[122:123]
	v_add_f64 v[72:73], v[80:81], v[72:73]
	v_add_f64 v[2:3], v[50:51], v[2:3]
	;; [unrolled: 1-line block ×3, first 2 shown]
	v_lshlrev_b32_e32 v4, 4, v189
	v_add_f64 v[180:181], v[180:181], v[196:197]
	v_add_f64 v[72:73], v[78:79], v[72:73]
	ds_write_b128 v4, v[0:3]
	ds_write_b128 v4, v[72:75] offset:16
	ds_write_b128 v4, v[86:89] offset:32
	;; [unrolled: 1-line block ×12, first 2 shown]
.LBB0_7:
	s_or_b64 exec, exec, s[16:17]
	s_movk_i32 s0, 0x4f
	v_mul_lo_u16_sdwa v0, v205, s0 dst_sel:DWORD dst_unused:UNUSED_PAD src0_sel:BYTE_0 src1_sel:DWORD
	v_lshrrev_b16_e32 v60, 10, v0
	v_mul_lo_u16_e32 v0, 13, v60
	v_sub_u16_e32 v0, v205, v0
	v_and_b32_e32 v61, 0xff, v0
	v_mul_u32_u24_e32 v0, 10, v61
	v_lshlrev_b32_e32 v0, 4, v0
	s_load_dwordx4 s[8:11], s[2:3], 0x0
	s_waitcnt lgkmcnt(0)
	s_barrier
	global_load_dwordx4 v[12:15], v0, s[6:7]
	global_load_dwordx4 v[174:177], v0, s[6:7] offset:16
	global_load_dwordx4 v[6:9], v0, s[6:7] offset:32
	;; [unrolled: 1-line block ×9, first 2 shown]
	ds_read_b128 v[62:65], v188
	ds_read_b128 v[36:39], v188 offset:1664
	ds_read_b128 v[48:51], v188 offset:3328
	;; [unrolled: 1-line block ×10, first 2 shown]
	s_mov_b32 s20, 0xf8bb580b
	s_mov_b32 s18, 0x43842ef
	;; [unrolled: 1-line block ×26, first 2 shown]
	v_mul_u32_u24_e32 v0, 0x8f, v60
	v_add_lshl_u32 v168, v0, v61, 4
	s_waitcnt lgkmcnt(0)
	s_barrier
	s_waitcnt lgkmcnt(0)
                                        ; implicit-def: $vgpr148_vgpr149
                                        ; implicit-def: $vgpr156_vgpr157
                                        ; implicit-def: $vgpr152_vgpr153
	s_waitcnt vmcnt(9)
	v_mul_f64 v[94:95], v[38:39], v[14:15]
	v_mul_f64 v[104:105], v[36:37], v[14:15]
	s_waitcnt vmcnt(8)
	v_mul_f64 v[106:107], v[50:51], v[176:177]
	v_mul_f64 v[108:109], v[48:49], v[176:177]
	;; [unrolled: 3-line block ×3, first 2 shown]
	v_fma_f64 v[36:37], v[36:37], v[12:13], -v[94:95]
	v_fmac_f64_e32 v[104:105], v[38:39], v[12:13]
	v_mul_f64 v[110:111], v[58:59], v[8:9]
	s_waitcnt vmcnt(0)
	v_mul_f64 v[130:131], v[92:93], v[34:35]
	v_mul_f64 v[112:113], v[56:57], v[8:9]
	;; [unrolled: 1-line block ×4, first 2 shown]
	v_fma_f64 v[94:95], v[48:49], v[174:175], -v[106:107]
	v_fmac_f64_e32 v[108:109], v[50:51], v[174:175]
	v_fma_f64 v[48:49], v[70:71], v[28:29], -v[116:117]
	v_fmac_f64_e32 v[44:45], v[72:73], v[28:29]
	v_fma_f64 v[38:39], v[90:91], v[32:33], -v[130:131]
	v_add_f64 v[70:71], v[62:63], v[36:37]
	v_add_f64 v[72:73], v[64:65], v[104:105]
	v_mul_f64 v[114:115], v[68:69], v[4:5]
	v_mul_f64 v[52:53], v[66:67], v[4:5]
	v_mul_f64 v[46:47], v[74:75], v[26:27]
	v_mul_f64 v[54:55], v[78:79], v[22:23]
	v_fma_f64 v[106:107], v[56:57], v[6:7], -v[110:111]
	v_fmac_f64_e32 v[112:113], v[58:59], v[6:7]
	v_fma_f64 v[50:51], v[74:75], v[24:25], -v[118:119]
	v_fma_f64 v[58:59], v[78:79], v[20:21], -v[120:121]
	v_add_f64 v[74:75], v[36:37], v[38:39]
	v_add_f64 v[78:79], v[36:37], -v[38:39]
	v_add_f64 v[36:37], v[70:71], v[94:95]
	v_add_f64 v[70:71], v[72:73], v[108:109]
	v_fma_f64 v[56:57], v[66:67], v[2:3], -v[114:115]
	v_fmac_f64_e32 v[52:53], v[68:69], v[2:3]
	v_add_f64 v[36:37], v[36:37], v[106:107]
	v_add_f64 v[70:71], v[70:71], v[112:113]
	;; [unrolled: 1-line block ×4, first 2 shown]
	v_fmac_f64_e32 v[46:47], v[76:77], v[24:25]
	v_add_f64 v[36:37], v[36:37], v[48:49]
	v_add_f64 v[70:71], v[70:71], v[44:45]
	v_mul_f64 v[122:123], v[84:85], v[18:19]
	v_mul_f64 v[124:125], v[82:83], v[18:19]
	;; [unrolled: 1-line block ×3, first 2 shown]
	v_fmac_f64_e32 v[54:55], v[80:81], v[20:21]
	v_add_f64 v[36:37], v[36:37], v[50:51]
	v_add_f64 v[70:71], v[70:71], v[46:47]
	v_mul_f64 v[126:127], v[88:89], v[42:43]
	v_mul_f64 v[128:129], v[86:87], v[42:43]
	v_fma_f64 v[66:67], v[82:83], v[16:17], -v[122:123]
	v_fmac_f64_e32 v[124:125], v[84:85], v[16:17]
	v_fmac_f64_e32 v[132:133], v[92:93], v[32:33]
	v_add_f64 v[36:37], v[36:37], v[58:59]
	v_add_f64 v[70:71], v[70:71], v[54:55]
	v_fma_f64 v[68:69], v[86:87], v[40:41], -v[126:127]
	v_fmac_f64_e32 v[128:129], v[88:89], v[40:41]
	v_add_f64 v[80:81], v[104:105], -v[132:133]
	v_add_f64 v[36:37], v[36:37], v[66:67]
	v_add_f64 v[70:71], v[70:71], v[124:125]
	;; [unrolled: 1-line block ×3, first 2 shown]
	v_mul_f64 v[72:73], v[80:81], s[20:21]
	v_add_f64 v[36:37], v[36:37], v[68:69]
	v_add_f64 v[70:71], v[70:71], v[128:129]
	v_mul_f64 v[82:83], v[78:79], s[20:21]
	v_mul_f64 v[86:87], v[80:81], s[16:17]
	;; [unrolled: 1-line block ×9, first 2 shown]
	v_add_f64 v[36:37], v[36:37], v[38:39]
	v_add_f64 v[38:39], v[70:71], v[132:133]
	v_fma_f64 v[70:71], v[74:75], s[22:23], -v[72:73]
	v_fma_f64 v[84:85], s[22:23], v[76:77], v[82:83]
	v_fmac_f64_e32 v[72:73], s[22:23], v[74:75]
	v_fma_f64 v[82:83], v[76:77], s[22:23], -v[82:83]
	v_fma_f64 v[88:89], v[74:75], s[0:1], -v[86:87]
	v_fma_f64 v[92:93], s[0:1], v[76:77], v[90:91]
	v_fmac_f64_e32 v[86:87], s[0:1], v[74:75]
	v_fma_f64 v[90:91], v[76:77], s[0:1], -v[90:91]
	;; [unrolled: 4-line block ×5, first 2 shown]
	v_add_f64 v[78:79], v[108:109], -v[128:129]
	v_add_f64 v[70:71], v[62:63], v[70:71]
	v_add_f64 v[84:85], v[64:65], v[84:85]
	v_add_f64 v[72:73], v[62:63], v[72:73]
	v_add_f64 v[82:83], v[64:65], v[82:83]
	v_add_f64 v[88:89], v[62:63], v[88:89]
	v_add_f64 v[92:93], v[64:65], v[92:93]
	v_add_f64 v[86:87], v[62:63], v[86:87]
	v_add_f64 v[90:91], v[64:65], v[90:91]
	v_add_f64 v[110:111], v[62:63], v[110:111]
	v_add_f64 v[116:117], v[64:65], v[116:117]
	v_add_f64 v[104:105], v[62:63], v[104:105]
	v_add_f64 v[114:115], v[64:65], v[114:115]
	v_add_f64 v[120:121], v[62:63], v[120:121]
	v_add_f64 v[126:127], v[64:65], v[126:127]
	v_add_f64 v[118:119], v[62:63], v[118:119]
	v_add_f64 v[122:123], v[64:65], v[122:123]
	v_add_f64 v[130:131], v[62:63], v[130:131]
	v_add_f64 v[132:133], v[64:65], v[132:133]
	v_add_f64 v[62:63], v[62:63], v[80:81]
	v_add_f64 v[64:65], v[64:65], v[74:75]
	v_add_f64 v[74:75], v[94:95], v[68:69]
	v_mul_f64 v[80:81], v[78:79], s[16:17]
	v_add_f64 v[68:69], v[94:95], -v[68:69]
	v_fma_f64 v[94:95], v[74:75], s[0:1], -v[80:81]
	v_add_f64 v[76:77], v[108:109], v[128:129]
	v_add_f64 v[70:71], v[94:95], v[70:71]
	v_mul_f64 v[94:95], v[68:69], s[16:17]
	v_fmac_f64_e32 v[80:81], s[0:1], v[74:75]
	v_add_f64 v[72:73], v[80:81], v[72:73]
	v_fma_f64 v[80:81], v[76:77], s[0:1], -v[94:95]
	v_add_f64 v[80:81], v[80:81], v[82:83]
	v_mul_f64 v[82:83], v[78:79], s[26:27]
	v_fma_f64 v[108:109], s[0:1], v[76:77], v[94:95]
	v_fma_f64 v[94:95], v[74:75], s[24:25], -v[82:83]
	v_add_f64 v[88:89], v[94:95], v[88:89]
	v_mul_f64 v[94:95], v[68:69], s[26:27]
	v_fmac_f64_e32 v[82:83], s[24:25], v[74:75]
	v_add_f64 v[82:83], v[82:83], v[86:87]
	v_fma_f64 v[86:87], v[76:77], s[24:25], -v[94:95]
	v_add_f64 v[84:85], v[108:109], v[84:85]
	v_fma_f64 v[108:109], s[24:25], v[76:77], v[94:95]
	v_add_f64 v[86:87], v[86:87], v[90:91]
	v_mul_f64 v[90:91], v[78:79], s[38:39]
	v_add_f64 v[92:93], v[108:109], v[92:93]
	v_fma_f64 v[94:95], v[74:75], s[28:29], -v[90:91]
	v_mul_f64 v[108:109], v[68:69], s[38:39]
	v_fmac_f64_e32 v[90:91], s[28:29], v[74:75]
	v_add_f64 v[94:95], v[94:95], v[110:111]
	v_fma_f64 v[110:111], s[28:29], v[76:77], v[108:109]
	v_add_f64 v[90:91], v[90:91], v[104:105]
	v_fma_f64 v[104:105], v[76:77], s[28:29], -v[108:109]
	v_mul_f64 v[108:109], v[78:79], s[36:37]
	v_add_f64 v[110:111], v[110:111], v[116:117]
	v_add_f64 v[104:105], v[104:105], v[114:115]
	v_fma_f64 v[114:115], v[74:75], s[2:3], -v[108:109]
	v_mul_f64 v[116:117], v[68:69], s[36:37]
	v_add_f64 v[114:115], v[114:115], v[120:121]
	v_fma_f64 v[120:121], s[2:3], v[76:77], v[116:117]
	v_fmac_f64_e32 v[108:109], s[2:3], v[74:75]
	v_fma_f64 v[116:117], v[76:77], s[2:3], -v[116:117]
	v_mul_f64 v[78:79], v[78:79], s[34:35]
	v_mul_f64 v[68:69], v[68:69], s[34:35]
	v_add_f64 v[108:109], v[108:109], v[118:119]
	v_add_f64 v[116:117], v[116:117], v[122:123]
	v_fma_f64 v[118:119], v[74:75], s[22:23], -v[78:79]
	v_fma_f64 v[122:123], s[22:23], v[76:77], v[68:69]
	v_fmac_f64_e32 v[78:79], s[22:23], v[74:75]
	v_fma_f64 v[68:69], v[76:77], s[22:23], -v[68:69]
	v_add_f64 v[76:77], v[112:113], -v[124:125]
	v_add_f64 v[62:63], v[78:79], v[62:63]
	v_add_f64 v[64:65], v[68:69], v[64:65]
	v_add_f64 v[68:69], v[106:107], v[66:67]
	v_mul_f64 v[78:79], v[76:77], s[18:19]
	v_add_f64 v[66:67], v[106:107], -v[66:67]
	v_fma_f64 v[106:107], v[68:69], s[2:3], -v[78:79]
	v_add_f64 v[74:75], v[112:113], v[124:125]
	v_add_f64 v[70:71], v[106:107], v[70:71]
	v_mul_f64 v[106:107], v[66:67], s[18:19]
	v_fmac_f64_e32 v[78:79], s[2:3], v[68:69]
	v_add_f64 v[72:73], v[78:79], v[72:73]
	v_fma_f64 v[78:79], v[74:75], s[2:3], -v[106:107]
	v_add_f64 v[78:79], v[78:79], v[80:81]
	v_mul_f64 v[80:81], v[76:77], s[38:39]
	v_fma_f64 v[112:113], s[2:3], v[74:75], v[106:107]
	v_fma_f64 v[106:107], v[68:69], s[28:29], -v[80:81]
	v_add_f64 v[88:89], v[106:107], v[88:89]
	v_mul_f64 v[106:107], v[66:67], s[38:39]
	v_fmac_f64_e32 v[80:81], s[28:29], v[68:69]
	v_add_f64 v[80:81], v[80:81], v[82:83]
	v_fma_f64 v[82:83], v[74:75], s[28:29], -v[106:107]
	s_mov_b32 s17, 0x3fed1bb4
	v_add_f64 v[82:83], v[82:83], v[86:87]
	v_mul_f64 v[86:87], v[76:77], s[16:17]
	v_add_f64 v[84:85], v[112:113], v[84:85]
	v_fma_f64 v[112:113], s[28:29], v[74:75], v[106:107]
	v_fma_f64 v[106:107], v[68:69], s[0:1], -v[86:87]
	v_add_f64 v[94:95], v[106:107], v[94:95]
	v_mul_f64 v[106:107], v[66:67], s[16:17]
	v_fmac_f64_e32 v[86:87], s[0:1], v[68:69]
	v_add_f64 v[86:87], v[86:87], v[90:91]
	v_fma_f64 v[90:91], v[74:75], s[0:1], -v[106:107]
	v_add_f64 v[92:93], v[112:113], v[92:93]
	v_fma_f64 v[112:113], s[0:1], v[74:75], v[106:107]
	v_add_f64 v[90:91], v[90:91], v[104:105]
	v_mul_f64 v[104:105], v[76:77], s[20:21]
	v_add_f64 v[110:111], v[112:113], v[110:111]
	v_fma_f64 v[106:107], v[68:69], s[22:23], -v[104:105]
	v_mul_f64 v[112:113], v[66:67], s[20:21]
	v_fmac_f64_e32 v[104:105], s[22:23], v[68:69]
	v_add_f64 v[104:105], v[104:105], v[108:109]
	v_fma_f64 v[108:109], v[74:75], s[22:23], -v[112:113]
	v_mul_f64 v[76:77], v[76:77], s[26:27]
	v_mul_f64 v[66:67], v[66:67], s[26:27]
	v_add_f64 v[106:107], v[106:107], v[114:115]
	v_fma_f64 v[114:115], s[22:23], v[74:75], v[112:113]
	v_add_f64 v[108:109], v[108:109], v[116:117]
	v_fma_f64 v[112:113], v[68:69], s[24:25], -v[76:77]
	v_fma_f64 v[116:117], s[24:25], v[74:75], v[66:67]
	v_fmac_f64_e32 v[76:77], s[24:25], v[68:69]
	v_fma_f64 v[66:67], v[74:75], s[24:25], -v[66:67]
	v_add_f64 v[68:69], v[52:53], v[54:55]
	v_add_f64 v[52:53], v[52:53], -v[54:55]
	v_add_f64 v[64:65], v[66:67], v[64:65]
	v_add_f64 v[66:67], v[56:57], v[58:59]
	v_mul_f64 v[54:55], v[52:53], s[26:27]
	v_add_f64 v[56:57], v[56:57], -v[58:59]
	v_fma_f64 v[58:59], v[66:67], s[24:25], -v[54:55]
	v_add_f64 v[58:59], v[58:59], v[70:71]
	v_mul_f64 v[70:71], v[56:57], s[26:27]
	v_fmac_f64_e32 v[54:55], s[24:25], v[66:67]
	v_fma_f64 v[74:75], s[24:25], v[68:69], v[70:71]
	v_add_f64 v[54:55], v[54:55], v[72:73]
	v_fma_f64 v[70:71], v[68:69], s[24:25], -v[70:71]
	v_mul_f64 v[72:73], v[52:53], s[36:37]
	v_add_f64 v[62:63], v[76:77], v[62:63]
	v_add_f64 v[70:71], v[70:71], v[78:79]
	v_fma_f64 v[76:77], v[66:67], s[2:3], -v[72:73]
	v_mul_f64 v[78:79], v[56:57], s[36:37]
	v_fmac_f64_e32 v[72:73], s[2:3], v[66:67]
	v_add_f64 v[74:75], v[74:75], v[84:85]
	v_fma_f64 v[84:85], s[2:3], v[68:69], v[78:79]
	v_add_f64 v[72:73], v[72:73], v[80:81]
	v_fma_f64 v[78:79], v[68:69], s[2:3], -v[78:79]
	v_mul_f64 v[80:81], v[52:53], s[20:21]
	v_add_f64 v[76:77], v[76:77], v[88:89]
	v_add_f64 v[78:79], v[78:79], v[82:83]
	v_fma_f64 v[82:83], v[66:67], s[22:23], -v[80:81]
	v_mul_f64 v[88:89], v[56:57], s[20:21]
	v_fmac_f64_e32 v[80:81], s[22:23], v[66:67]
	v_add_f64 v[84:85], v[84:85], v[92:93]
	v_fma_f64 v[92:93], s[22:23], v[68:69], v[88:89]
	v_add_f64 v[80:81], v[80:81], v[86:87]
	v_fma_f64 v[86:87], v[68:69], s[22:23], -v[88:89]
	v_mul_f64 v[88:89], v[52:53], s[30:31]
	v_add_f64 v[118:119], v[118:119], v[130:131]
	v_add_f64 v[86:87], v[86:87], v[90:91]
	v_fma_f64 v[90:91], v[66:67], s[28:29], -v[88:89]
	v_fmac_f64_e32 v[88:89], s[28:29], v[66:67]
	v_mul_f64 v[52:53], v[52:53], s[16:17]
	v_add_f64 v[120:121], v[120:121], v[126:127]
	v_add_f64 v[122:123], v[122:123], v[132:133]
	;; [unrolled: 1-line block ×4, first 2 shown]
	v_mul_f64 v[94:95], v[56:57], s[30:31]
	v_add_f64 v[88:89], v[88:89], v[104:105]
	v_fma_f64 v[104:105], v[66:67], s[0:1], -v[52:53]
	v_mul_f64 v[56:57], v[56:57], s[16:17]
	v_fmac_f64_e32 v[52:53], s[0:1], v[66:67]
	v_add_f64 v[66:67], v[44:45], -v[46:47]
	v_add_f64 v[114:115], v[114:115], v[120:121]
	v_add_f64 v[116:117], v[116:117], v[122:123]
	;; [unrolled: 1-line block ×3, first 2 shown]
	v_fma_f64 v[106:107], s[28:29], v[68:69], v[94:95]
	v_fma_f64 v[94:95], v[68:69], s[28:29], -v[94:95]
	v_add_f64 v[120:121], v[104:105], v[112:113]
	v_fma_f64 v[104:105], s[0:1], v[68:69], v[56:57]
	v_add_f64 v[122:123], v[52:53], v[62:63]
	v_fma_f64 v[52:53], v[68:69], s[0:1], -v[56:57]
	v_add_f64 v[126:127], v[48:49], v[50:51]
	v_add_f64 v[68:69], v[48:49], -v[50:51]
	v_mul_f64 v[48:49], v[66:67], s[30:31]
	v_add_f64 v[128:129], v[44:45], v[46:47]
	v_fma_f64 v[44:45], v[126:127], s[28:29], -v[48:49]
	v_mul_f64 v[50:51], v[68:69], s[30:31]
	v_fmac_f64_e32 v[48:49], s[28:29], v[126:127]
	v_add_f64 v[94:95], v[94:95], v[108:109]
	v_add_f64 v[124:125], v[52:53], v[64:65]
	;; [unrolled: 1-line block ×3, first 2 shown]
	v_fma_f64 v[48:49], v[128:129], s[28:29], -v[50:51]
	v_mul_f64 v[52:53], v[66:67], s[34:35]
	v_add_f64 v[92:93], v[92:93], v[110:111]
	v_add_f64 v[110:111], v[48:49], v[70:71]
	v_fma_f64 v[48:49], v[126:127], s[22:23], -v[52:53]
	v_mul_f64 v[54:55], v[68:69], s[34:35]
	v_fmac_f64_e32 v[52:53], s[22:23], v[126:127]
	v_add_f64 v[112:113], v[52:53], v[72:73]
	v_fma_f64 v[52:53], v[128:129], s[22:23], -v[54:55]
	v_mul_f64 v[56:57], v[66:67], s[26:27]
	v_add_f64 v[118:119], v[106:107], v[114:115]
	v_add_f64 v[44:45], v[44:45], v[58:59]
	;; [unrolled: 1-line block ×3, first 2 shown]
	v_fma_f64 v[52:53], v[126:127], s[24:25], -v[56:57]
	v_mul_f64 v[58:59], v[68:69], s[26:27]
	v_fmac_f64_e32 v[56:57], s[24:25], v[126:127]
	v_add_f64 v[116:117], v[104:105], v[116:117]
	v_add_f64 v[104:105], v[56:57], v[80:81]
	v_fma_f64 v[56:57], v[128:129], s[24:25], -v[58:59]
	v_mul_f64 v[62:63], v[66:67], s[16:17]
	v_mul_f64 v[64:65], v[68:69], s[16:17]
	;; [unrolled: 1-line block ×4, first 2 shown]
	v_fma_f64 v[46:47], s[28:29], v[128:129], v[50:51]
	v_fma_f64 v[50:51], s[22:23], v[128:129], v[54:55]
	;; [unrolled: 1-line block ×3, first 2 shown]
	v_add_f64 v[106:107], v[56:57], v[86:87]
	v_fma_f64 v[56:57], v[126:127], s[0:1], -v[62:63]
	v_fma_f64 v[58:59], s[0:1], v[128:129], v[64:65]
	v_fmac_f64_e32 v[62:63], s[0:1], v[126:127]
	v_fma_f64 v[64:65], v[128:129], s[0:1], -v[64:65]
	v_fma_f64 v[66:67], v[126:127], s[2:3], -v[70:71]
	v_fma_f64 v[68:69], s[2:3], v[128:129], v[72:73]
	v_fmac_f64_e32 v[70:71], s[2:3], v[126:127]
	v_fma_f64 v[72:73], v[128:129], s[2:3], -v[72:73]
	v_add_f64 v[46:47], v[46:47], v[74:75]
	v_add_f64 v[48:49], v[48:49], v[76:77]
	;; [unrolled: 1-line block ×13, first 2 shown]
	ds_write_b128 v168, v[36:39]
	ds_write_b128 v168, v[44:47] offset:208
	ds_write_b128 v168, v[48:51] offset:416
	;; [unrolled: 1-line block ×10, first 2 shown]
	s_waitcnt lgkmcnt(0)
	s_barrier
	ds_read_b128 v[116:119], v188
	ds_read_b128 v[144:147], v188 offset:2288
	ds_read_b128 v[140:143], v188 offset:4576
	;; [unrolled: 1-line block ×7, first 2 shown]
	v_cmp_gt_u16_e64 s[2:3], 39, v205
	s_and_saveexec_b64 s[0:1], s[2:3]
	s_cbranch_execz .LBB0_9
; %bb.8:
	ds_read_b128 v[104:107], v188 offset:1664
	ds_read_b128 v[112:115], v188 offset:3952
	;; [unrolled: 1-line block ×8, first 2 shown]
.LBB0_9:
	s_or_b64 exec, exec, s[0:1]
	s_movk_i32 s0, 0x70
	v_mov_b64_e32 v[36:37], s[6:7]
	v_mad_u64_u32 v[36:37], s[0:1], v205, s0, v[36:37]
	global_load_dwordx4 v[80:83], v[36:37], off offset:2080
	global_load_dwordx4 v[76:79], v[36:37], off offset:2096
	;; [unrolled: 1-line block ×7, first 2 shown]
	v_add_u32_e32 v0, 0x68, v205
	v_subrev_u32_e32 v1, 39, v205
	v_cndmask_b32_e64 v0, v1, v0, s[2:3]
	v_mul_hi_i32_i24_e32 v37, 0x70, v0
	v_mul_i32_i24_e32 v36, 0x70, v0
	v_lshl_add_u64 v[36:37], s[6:7], 0, v[36:37]
	global_load_dwordx4 v[194:197], v[36:37], off offset:2080
	global_load_dwordx4 v[182:185], v[36:37], off offset:2096
	;; [unrolled: 1-line block ×7, first 2 shown]
	s_mov_b32 s0, 0x667f3bcd
	s_mov_b32 s1, 0xbfe6a09e
	;; [unrolled: 1-line block ×4, first 2 shown]
	s_waitcnt vmcnt(13) lgkmcnt(6)
	v_mul_f64 v[36:37], v[146:147], v[82:83]
	v_mul_f64 v[38:39], v[144:145], v[82:83]
	s_waitcnt vmcnt(12) lgkmcnt(5)
	v_mul_f64 v[44:45], v[142:143], v[78:79]
	v_mul_f64 v[46:47], v[140:141], v[78:79]
	;; [unrolled: 3-line block ×7, first 2 shown]
	v_fma_f64 v[36:37], v[144:145], v[80:81], -v[36:37]
	v_fmac_f64_e32 v[38:39], v[146:147], v[80:81]
	v_fma_f64 v[44:45], v[140:141], v[76:77], -v[44:45]
	v_fmac_f64_e32 v[46:47], v[142:143], v[76:77]
	v_fma_f64 v[48:49], v[136:137], v[72:73], -v[48:49]
	v_fmac_f64_e32 v[50:51], v[138:139], v[72:73]
	v_fma_f64 v[52:53], v[132:133], v[68:69], -v[52:53]
	v_fmac_f64_e32 v[54:55], v[134:135], v[68:69]
	v_fma_f64 v[56:57], v[128:129], v[92:93], -v[56:57]
	v_fmac_f64_e32 v[58:59], v[130:131], v[92:93]
	v_fma_f64 v[60:61], v[124:125], v[88:89], -v[60:61]
	v_fmac_f64_e32 v[62:63], v[126:127], v[88:89]
	v_fma_f64 v[64:65], v[120:121], v[84:85], -v[64:65]
	v_fmac_f64_e32 v[66:67], v[122:123], v[84:85]
	s_waitcnt vmcnt(5)
	v_mul_f64 v[122:123], v[110:111], v[184:185]
	v_mul_f64 v[142:143], v[108:109], v[184:185]
	v_add_f64 v[52:53], v[116:117], -v[52:53]
	v_add_f64 v[54:55], v[118:119], -v[54:55]
	;; [unrolled: 1-line block ×8, first 2 shown]
	v_fma_f64 v[170:171], v[108:109], v[182:183], -v[122:123]
	v_fmac_f64_e32 v[142:143], v[110:111], v[182:183]
	v_fma_f64 v[108:109], v[116:117], 2.0, -v[52:53]
	v_fma_f64 v[110:111], v[118:119], 2.0, -v[54:55]
	v_fma_f64 v[44:45], v[44:45], 2.0, -v[60:61]
	v_fma_f64 v[46:47], v[46:47], 2.0, -v[62:63]
	v_fma_f64 v[36:37], v[36:37], 2.0, -v[56:57]
	v_fma_f64 v[38:39], v[38:39], 2.0, -v[58:59]
	v_fma_f64 v[48:49], v[48:49], 2.0, -v[64:65]
	v_fma_f64 v[50:51], v[50:51], 2.0, -v[66:67]
	v_add_f64 v[62:63], v[52:53], -v[62:63]
	v_add_f64 v[60:61], v[54:55], v[60:61]
	v_add_f64 v[66:67], v[56:57], -v[66:67]
	v_add_f64 v[64:65], v[58:59], v[64:65]
	v_mul_f64 v[120:121], v[114:115], v[196:197]
	v_mul_f64 v[140:141], v[112:113], v[196:197]
	s_waitcnt vmcnt(4)
	v_mul_f64 v[124:125], v[102:103], v[202:203]
	v_mul_f64 v[144:145], v[100:101], v[202:203]
	s_waitcnt vmcnt(3)
	;; [unrolled: 3-line block ×5, first 2 shown]
	v_mul_f64 v[132:133], v[158:159], v[192:193]
	v_mul_f64 v[164:165], v[156:157], v[192:193]
	v_add_f64 v[44:45], v[108:109], -v[44:45]
	v_add_f64 v[46:47], v[110:111], -v[46:47]
	v_fma_f64 v[52:53], v[52:53], 2.0, -v[62:63]
	v_fma_f64 v[54:55], v[54:55], 2.0, -v[60:61]
	v_add_f64 v[48:49], v[36:37], -v[48:49]
	v_add_f64 v[50:51], v[38:39], -v[50:51]
	v_fma_f64 v[56:57], v[56:57], 2.0, -v[66:67]
	v_fma_f64 v[58:59], v[58:59], 2.0, -v[64:65]
	v_fma_f64 v[166:167], v[112:113], v[194:195], -v[120:121]
	v_fmac_f64_e32 v[140:141], v[114:115], v[194:195]
	v_fma_f64 v[100:101], v[100:101], v[200:201], -v[124:125]
	v_fmac_f64_e32 v[144:145], v[102:103], v[200:201]
	;; [unrolled: 2-line block ×6, first 2 shown]
	v_fma_f64 v[108:109], v[108:109], 2.0, -v[44:45]
	v_fma_f64 v[110:111], v[110:111], 2.0, -v[46:47]
	;; [unrolled: 1-line block ×4, first 2 shown]
	v_fma_f64 v[124:125], s[0:1], v[56:57], v[52:53]
	v_fma_f64 v[126:127], s[0:1], v[58:59], v[54:55]
	v_fma_f64 v[136:137], s[6:7], v[66:67], v[62:63]
	v_fma_f64 v[138:139], s[6:7], v[64:65], v[60:61]
	v_add_f64 v[112:113], v[108:109], -v[36:37]
	v_add_f64 v[114:115], v[110:111], -v[38:39]
	v_fmac_f64_e32 v[124:125], s[0:1], v[58:59]
	v_fmac_f64_e32 v[126:127], s[6:7], v[56:57]
	v_add_f64 v[132:133], v[44:45], -v[50:51]
	v_add_f64 v[134:135], v[46:47], v[48:49]
	v_fmac_f64_e32 v[136:137], s[0:1], v[64:65]
	v_fmac_f64_e32 v[138:139], s[6:7], v[66:67]
	v_add_f64 v[36:37], v[104:105], -v[96:97]
	v_add_f64 v[38:39], v[106:107], -v[146:147]
	;; [unrolled: 1-line block ×8, first 2 shown]
	v_fma_f64 v[116:117], v[52:53], 2.0, -v[124:125]
	v_fma_f64 v[118:119], v[54:55], 2.0, -v[126:127]
	;; [unrolled: 1-line block ×14, first 2 shown]
	v_add_f64 v[50:51], v[36:37], -v[50:51]
	v_add_f64 v[48:49], v[38:39], v[48:49]
	v_add_f64 v[66:67], v[56:57], -v[66:67]
	v_add_f64 v[64:65], v[58:59], v[64:65]
	v_add_f64 v[52:53], v[44:45], -v[52:53]
	v_add_f64 v[54:55], v[46:47], -v[54:55]
	v_fma_f64 v[36:37], v[36:37], 2.0, -v[50:51]
	v_fma_f64 v[38:39], v[38:39], 2.0, -v[48:49]
	v_add_f64 v[102:103], v[60:61], -v[96:97]
	v_add_f64 v[100:101], v[62:63], -v[98:99]
	v_fma_f64 v[56:57], v[56:57], 2.0, -v[66:67]
	v_fma_f64 v[58:59], v[58:59], 2.0, -v[64:65]
	;; [unrolled: 1-line block ×6, first 2 shown]
	v_fma_f64 v[96:97], s[0:1], v[56:57], v[36:37]
	v_fma_f64 v[98:99], s[0:1], v[58:59], v[38:39]
	;; [unrolled: 1-line block ×4, first 2 shown]
	v_accvgpr_write_b32 a38, v190
	v_add_f64 v[152:153], v[44:45], -v[60:61]
	v_add_f64 v[154:155], v[46:47], -v[62:63]
	v_fmac_f64_e32 v[96:97], s[0:1], v[58:59]
	v_fmac_f64_e32 v[98:99], s[6:7], v[56:57]
	v_add_f64 v[100:101], v[52:53], -v[100:101]
	v_add_f64 v[102:103], v[54:55], v[102:103]
	v_fmac_f64_e32 v[104:105], s[0:1], v[64:65]
	v_fmac_f64_e32 v[106:107], s[6:7], v[66:67]
	v_accvgpr_write_b32 a39, v191
	v_accvgpr_write_b32 a40, v192
	;; [unrolled: 1-line block ×3, first 2 shown]
	v_fma_f64 v[108:109], v[108:109], 2.0, -v[112:113]
	v_fma_f64 v[110:111], v[110:111], 2.0, -v[114:115]
	;; [unrolled: 1-line block ×10, first 2 shown]
	ds_write_b128 v188, v[108:111]
	ds_write_b128 v188, v[116:119] offset:2288
	ds_write_b128 v188, v[120:123] offset:4576
	ds_write_b128 v188, v[128:131] offset:6864
	ds_write_b128 v188, v[112:115] offset:9152
	ds_write_b128 v188, v[124:127] offset:11440
	ds_write_b128 v188, v[132:135] offset:13728
	ds_write_b128 v188, v[136:139] offset:16016
	s_and_saveexec_b64 s[0:1], s[2:3]
	s_cbranch_execz .LBB0_11
; %bb.10:
	ds_write_b128 v188, v[140:143] offset:1664
	ds_write_b128 v188, v[144:147] offset:3952
	ds_write_b128 v188, v[148:151] offset:6240
	ds_write_b128 v188, v[156:159] offset:8528
	ds_write_b128 v188, v[152:155] offset:10816
	ds_write_b128 v188, v[96:99] offset:13104
	ds_write_b128 v188, v[100:103] offset:15392
	ds_write_b128 v188, v[104:107] offset:17680
.LBB0_11:
	s_or_b64 exec, exec, s[0:1]
	s_waitcnt lgkmcnt(0)
	s_barrier
	s_and_saveexec_b64 s[0:1], s[4:5]
	s_cbranch_execz .LBB0_13
; %bb.12:
	v_mov_b32_e32 v0, v189
	v_mov_b32_e32 v189, 0
	v_lshl_add_u64 v[160:161], s[14:15], 0, v[188:189]
	v_add_co_u32_e32 v44, vcc, 0x4000, v160
	ds_read_b128 v[36:39], v188
	s_nop 0
	v_addc_co_u32_e32 v45, vcc, 0, v161, vcc
	global_load_dwordx4 v[44:47], v[44:45], off offset:1920
	s_mov_b64 s[6:7], 0x4780
	v_lshl_add_u64 v[52:53], v[160:161], 0, s[6:7]
	s_movk_i32 s6, 0x5000
	v_mov_b32_e32 v189, v0
	s_waitcnt vmcnt(0) lgkmcnt(0)
	v_mul_f64 v[48:49], v[38:39], v[46:47]
	v_mul_f64 v[50:51], v[36:37], v[46:47]
	v_fma_f64 v[48:49], v[36:37], v[44:45], -v[48:49]
	v_fmac_f64_e32 v[50:51], v[38:39], v[44:45]
	global_load_dwordx4 v[44:47], v[52:53], off offset:1408
	ds_read_b128 v[36:39], v188 offset:1408
	ds_write_b128 v188, v[48:51]
	s_waitcnt vmcnt(0) lgkmcnt(1)
	v_mul_f64 v[48:49], v[38:39], v[46:47]
	v_mul_f64 v[50:51], v[36:37], v[46:47]
	v_fma_f64 v[48:49], v[36:37], v[44:45], -v[48:49]
	v_fmac_f64_e32 v[50:51], v[38:39], v[44:45]
	global_load_dwordx4 v[44:47], v[52:53], off offset:2816
	ds_read_b128 v[36:39], v188 offset:2816
	v_add_co_u32_e32 v52, vcc, s6, v160
	ds_write_b128 v188, v[48:51] offset:1408
	s_nop 0
	v_addc_co_u32_e32 v53, vcc, 0, v161, vcc
	s_movk_i32 s6, 0x6000
	s_waitcnt vmcnt(0) lgkmcnt(1)
	v_mul_f64 v[48:49], v[38:39], v[46:47]
	v_mul_f64 v[50:51], v[36:37], v[46:47]
	v_fma_f64 v[48:49], v[36:37], v[44:45], -v[48:49]
	v_fmac_f64_e32 v[50:51], v[38:39], v[44:45]
	global_load_dwordx4 v[44:47], v[52:53], off offset:2048
	ds_read_b128 v[36:39], v188 offset:4224
	ds_write_b128 v188, v[48:51] offset:2816
	s_waitcnt vmcnt(0) lgkmcnt(1)
	v_mul_f64 v[48:49], v[38:39], v[46:47]
	v_mul_f64 v[50:51], v[36:37], v[46:47]
	v_fma_f64 v[48:49], v[36:37], v[44:45], -v[48:49]
	v_fmac_f64_e32 v[50:51], v[38:39], v[44:45]
	global_load_dwordx4 v[44:47], v[52:53], off offset:3456
	ds_read_b128 v[36:39], v188 offset:5632
	v_add_co_u32_e32 v52, vcc, s6, v160
	ds_write_b128 v188, v[48:51] offset:4224
	s_nop 0
	v_addc_co_u32_e32 v53, vcc, 0, v161, vcc
	s_movk_i32 s6, 0x7000
	s_waitcnt vmcnt(0) lgkmcnt(1)
	v_mul_f64 v[48:49], v[38:39], v[46:47]
	v_mul_f64 v[50:51], v[36:37], v[46:47]
	v_fma_f64 v[48:49], v[36:37], v[44:45], -v[48:49]
	v_fmac_f64_e32 v[50:51], v[38:39], v[44:45]
	global_load_dwordx4 v[44:47], v[52:53], off offset:768
	ds_read_b128 v[36:39], v188 offset:7040
	ds_write_b128 v188, v[48:51] offset:5632
	s_waitcnt vmcnt(0) lgkmcnt(1)
	v_mul_f64 v[48:49], v[38:39], v[46:47]
	v_mul_f64 v[50:51], v[36:37], v[46:47]
	v_fma_f64 v[48:49], v[36:37], v[44:45], -v[48:49]
	v_fmac_f64_e32 v[50:51], v[38:39], v[44:45]
	global_load_dwordx4 v[44:47], v[52:53], off offset:2176
	ds_read_b128 v[36:39], v188 offset:8448
	ds_write_b128 v188, v[48:51] offset:7040
	s_waitcnt vmcnt(0) lgkmcnt(1)
	v_mul_f64 v[48:49], v[38:39], v[46:47]
	v_mul_f64 v[50:51], v[36:37], v[46:47]
	v_fma_f64 v[48:49], v[36:37], v[44:45], -v[48:49]
	v_fmac_f64_e32 v[50:51], v[38:39], v[44:45]
	global_load_dwordx4 v[44:47], v[52:53], off offset:3584
	ds_read_b128 v[36:39], v188 offset:9856
	v_add_co_u32_e32 v52, vcc, s6, v160
	ds_write_b128 v188, v[48:51] offset:8448
	s_nop 0
	v_addc_co_u32_e32 v53, vcc, 0, v161, vcc
	s_mov_b32 s6, 0x8000
	s_waitcnt vmcnt(0) lgkmcnt(1)
	v_mul_f64 v[48:49], v[38:39], v[46:47]
	v_mul_f64 v[50:51], v[36:37], v[46:47]
	v_fma_f64 v[48:49], v[36:37], v[44:45], -v[48:49]
	v_fmac_f64_e32 v[50:51], v[38:39], v[44:45]
	global_load_dwordx4 v[44:47], v[52:53], off offset:896
	ds_read_b128 v[36:39], v188 offset:11264
	ds_write_b128 v188, v[48:51] offset:9856
	s_waitcnt vmcnt(0) lgkmcnt(1)
	v_mul_f64 v[48:49], v[38:39], v[46:47]
	v_mul_f64 v[50:51], v[36:37], v[46:47]
	v_fma_f64 v[48:49], v[36:37], v[44:45], -v[48:49]
	v_fmac_f64_e32 v[50:51], v[38:39], v[44:45]
	global_load_dwordx4 v[44:47], v[52:53], off offset:2304
	ds_read_b128 v[36:39], v188 offset:12672
	ds_write_b128 v188, v[48:51] offset:11264
	s_waitcnt vmcnt(0) lgkmcnt(1)
	v_mul_f64 v[48:49], v[38:39], v[46:47]
	v_mul_f64 v[50:51], v[36:37], v[46:47]
	v_fma_f64 v[48:49], v[36:37], v[44:45], -v[48:49]
	v_fmac_f64_e32 v[50:51], v[38:39], v[44:45]
	global_load_dwordx4 v[44:47], v[52:53], off offset:3712
	ds_read_b128 v[36:39], v188 offset:14080
	v_add_co_u32_e32 v52, vcc, s6, v160
	ds_write_b128 v188, v[48:51] offset:12672
	s_nop 0
	v_addc_co_u32_e32 v53, vcc, 0, v161, vcc
	ds_read_b128 v[160:163], v188 offset:16896
	s_waitcnt vmcnt(0) lgkmcnt(2)
	v_mul_f64 v[48:49], v[38:39], v[46:47]
	v_mul_f64 v[50:51], v[36:37], v[46:47]
	v_fma_f64 v[48:49], v[36:37], v[44:45], -v[48:49]
	v_fmac_f64_e32 v[50:51], v[38:39], v[44:45]
	global_load_dwordx4 v[44:47], v[52:53], off offset:1024
	ds_read_b128 v[36:39], v188 offset:15488
	ds_write_b128 v188, v[48:51] offset:14080
	s_waitcnt vmcnt(0) lgkmcnt(1)
	v_mul_f64 v[48:49], v[38:39], v[46:47]
	v_mul_f64 v[50:51], v[36:37], v[46:47]
	v_fma_f64 v[48:49], v[36:37], v[44:45], -v[48:49]
	v_fmac_f64_e32 v[50:51], v[38:39], v[44:45]
	global_load_dwordx4 v[36:39], v[52:53], off offset:2432
	ds_write_b128 v188, v[48:51] offset:15488
	s_waitcnt vmcnt(0)
	v_mul_f64 v[44:45], v[162:163], v[38:39]
	v_mul_f64 v[46:47], v[160:161], v[38:39]
	v_fma_f64 v[44:45], v[160:161], v[36:37], -v[44:45]
	v_fmac_f64_e32 v[46:47], v[162:163], v[36:37]
	ds_write_b128 v188, v[44:47] offset:16896
.LBB0_13:
	s_or_b64 exec, exec, s[0:1]
	s_waitcnt lgkmcnt(0)
	s_barrier
	s_and_saveexec_b64 s[0:1], s[4:5]
	s_cbranch_execz .LBB0_15
; %bb.14:
	ds_read_b128 v[108:111], v188
	ds_read_b128 v[116:119], v188 offset:1408
	ds_read_b128 v[120:123], v188 offset:2816
	ds_read_b128 v[128:131], v188 offset:4224
	ds_read_b128 v[112:115], v188 offset:5632
	ds_read_b128 v[124:127], v188 offset:7040
	ds_read_b128 v[132:135], v188 offset:8448
	ds_read_b128 v[136:139], v188 offset:9856
	ds_read_b128 v[140:143], v188 offset:11264
	ds_read_b128 v[144:147], v188 offset:12672
	ds_read_b128 v[148:151], v188 offset:14080
	ds_read_b128 v[156:159], v188 offset:15488
	ds_read_b128 v[152:155], v188 offset:16896
.LBB0_15:
	s_or_b64 exec, exec, s[0:1]
	s_mov_b32 s42, 0x4267c47c
	s_waitcnt lgkmcnt(0)
	v_add_f64 v[214:215], v[118:119], -v[154:155]
	s_mov_b32 s6, 0xe00740e9
	s_mov_b32 s43, 0xbfddbe06
	;; [unrolled: 1-line block ×3, first 2 shown]
	v_add_f64 v[198:199], v[152:153], v[116:117]
	v_add_f64 v[206:207], v[154:155], v[118:119]
	s_mov_b32 s7, 0x3fec55a7
	v_mul_f64 v[0:1], v[214:215], s[42:43]
	s_mov_b32 s16, 0x1ea71119
	s_mov_b32 s21, 0xbfea55e2
	v_add_f64 v[232:233], v[122:123], -v[158:159]
	v_add_f64 v[222:223], v[116:117], -v[152:153]
	v_mul_f64 v[10:11], v[206:207], s[6:7]
	v_fma_f64 v[36:37], v[198:199], s[6:7], -v[0:1]
	s_mov_b32 s17, 0x3fe22d96
	v_add_f64 v[216:217], v[120:121], v[156:157]
	v_add_f64 v[224:225], v[122:123], v[158:159]
	v_mul_f64 v[170:171], v[232:233], s[20:21]
	v_add_f64 v[36:37], v[108:109], v[36:37]
	v_fma_f64 v[38:39], s[42:43], v[222:223], v[10:11]
	v_add_f64 v[244:245], v[120:121], -v[156:157]
	v_mul_f64 v[186:187], v[224:225], s[16:17]
	v_fma_f64 v[48:49], v[216:217], s[16:17], -v[170:171]
	v_add_f64 v[38:39], v[110:111], v[38:39]
	v_add_f64 v[36:37], v[48:49], v[36:37]
	v_fma_f64 v[48:49], s[20:21], v[244:245], v[186:187]
	s_mov_b32 s18, 0xb2365da1
	s_mov_b32 s27, 0xbfedeba7
	;; [unrolled: 1-line block ×3, first 2 shown]
	v_mul_f64 v[212:213], v[214:215], s[20:21]
	v_add_f64 v[48:49], v[48:49], v[38:39]
	s_mov_b32 s19, 0xbfd6b1d8
	v_mul_f64 v[38:39], v[232:233], s[26:27]
	v_mul_f64 v[46:47], v[206:207], s[16:17]
	v_fma_f64 v[44:45], v[198:199], s[16:17], -v[212:213]
	v_mul_f64 v[50:51], v[224:225], s[18:19]
	v_accvgpr_write_b32 a51, v39
	s_mov_b32 s28, 0x66966769
	v_add_f64 v[44:45], v[108:109], v[44:45]
	v_accvgpr_write_b32 a46, v46
	v_accvgpr_write_b32 a50, v38
	v_fma_f64 v[38:39], v[216:217], s[18:19], -v[38:39]
	v_accvgpr_write_b32 a55, v51
	v_add_f64 v[248:249], v[130:131], -v[150:151]
	s_mov_b32 s29, 0xbfefc445
	v_accvgpr_write_b32 a47, v47
	v_fma_f64 v[46:47], s[20:21], v[222:223], v[46:47]
	v_add_f64 v[44:45], v[38:39], v[44:45]
	v_accvgpr_write_b32 a54, v50
	v_fma_f64 v[38:39], s[26:27], v[244:245], v[50:51]
	s_mov_b32 s22, 0xebaa3ed8
	v_mul_f64 v[50:51], v[248:249], s[28:29]
	v_add_f64 v[46:47], v[110:111], v[46:47]
	v_add_f64 v[228:229], v[148:149], v[128:129]
	;; [unrolled: 1-line block ×3, first 2 shown]
	s_mov_b32 s23, 0x3fbedb7d
	v_accvgpr_write_b32 a48, v50
	s_mov_b32 s34, 0x4bc48dbf
	v_add_f64 v[46:47], v[38:39], v[46:47]
	v_add_f64 v[38:39], v[128:129], -v[148:149]
	v_mul_f64 v[54:55], v[238:239], s[22:23]
	v_accvgpr_write_b32 a49, v51
	v_fma_f64 v[50:51], v[228:229], s[22:23], -v[50:51]
	s_mov_b32 s24, 0x93053d00
	s_mov_b32 s35, 0xbfcea1e5
	v_add_f64 v[52:53], v[50:51], v[36:37]
	v_fma_f64 v[36:37], s[28:29], v[38:39], v[54:55]
	s_mov_b32 s25, 0xbfef11f4
	v_mul_f64 v[230:231], v[248:249], s[34:35]
	v_accvgpr_write_b32 a52, v54
	v_add_f64 v[48:49], v[36:37], v[48:49]
	v_mul_f64 v[236:237], v[238:239], s[24:25]
	v_fma_f64 v[36:37], v[228:229], s[24:25], -v[230:231]
	v_add_f64 v[50:51], v[114:115], -v[146:147]
	v_accvgpr_write_b32 a53, v55
	v_add_f64 v[44:45], v[36:37], v[44:45]
	v_fma_f64 v[36:37], s[34:35], v[38:39], v[236:237]
	v_mul_f64 v[54:55], v[50:51], s[26:27]
	v_add_f64 v[46:47], v[36:37], v[46:47]
	v_add_f64 v[250:251], v[144:145], v[112:113]
	;; [unrolled: 1-line block ×3, first 2 shown]
	v_accvgpr_write_b32 a57, v55
	s_mov_b32 s40, 0x24c2f84
	v_add_f64 v[58:59], v[112:113], -v[144:145]
	v_mul_f64 v[226:227], v[36:37], s[18:19]
	v_accvgpr_write_b32 a56, v54
	v_fma_f64 v[54:55], v[250:251], s[18:19], -v[54:55]
	s_mov_b32 s30, 0xd0032e0c
	s_mov_b32 s41, 0x3fe5384d
	v_add_f64 v[54:55], v[54:55], v[52:53]
	v_fma_f64 v[52:53], s[26:27], v[58:59], v[226:227]
	s_mov_b32 s31, 0xbfe7f3cc
	v_mul_f64 v[240:241], v[50:51], s[40:41]
	v_add_f64 v[48:49], v[52:53], v[48:49]
	v_mul_f64 v[252:253], v[36:37], s[30:31]
	v_fma_f64 v[52:53], v[250:251], s[30:31], -v[240:241]
	v_add_f64 v[56:57], v[52:53], v[44:45]
	v_fma_f64 v[44:45], s[40:41], v[58:59], v[252:253]
	v_add_f64 v[60:61], v[126:127], -v[142:143]
	s_mov_b32 s37, 0xbfe5384d
	s_mov_b32 s36, s40
	v_add_f64 v[62:63], v[44:45], v[46:47]
	v_add_f64 v[46:47], v[124:125], v[140:141]
	;; [unrolled: 1-line block ×3, first 2 shown]
	v_mul_f64 v[234:235], v[60:61], s[36:37]
	v_add_f64 v[64:65], v[124:125], -v[140:141]
	v_mul_f64 v[242:243], v[52:53], s[30:31]
	v_fma_f64 v[44:45], v[46:47], s[30:31], -v[234:235]
	s_mov_b32 s45, 0x3fefc445
	s_mov_b32 s44, s28
	v_add_f64 v[54:55], v[44:45], v[54:55]
	v_fma_f64 v[44:45], s[36:37], v[64:65], v[242:243]
	v_mul_f64 v[190:191], v[60:61], s[44:45]
	v_add_f64 v[48:49], v[44:45], v[48:49]
	v_mul_f64 v[44:45], v[52:53], s[22:23]
	v_fma_f64 v[66:67], v[46:47], s[22:23], -v[190:191]
	v_add_f64 v[164:165], v[66:67], v[56:57]
	v_fma_f64 v[56:57], s[44:45], v[64:65], v[44:45]
	v_add_f64 v[66:67], v[134:135], -v[138:139]
	v_add_f64 v[166:167], v[56:57], v[62:63]
	v_add_f64 v[56:57], v[136:137], v[132:133]
	;; [unrolled: 1-line block ×3, first 2 shown]
	v_mul_f64 v[246:247], v[66:67], s[34:35]
	v_add_f64 v[192:193], v[132:133], -v[136:137]
	v_mul_f64 v[254:255], v[62:63], s[24:25]
	v_fma_f64 v[160:161], v[56:57], s[24:25], -v[246:247]
	v_add_f64 v[160:161], v[160:161], v[54:55]
	v_fma_f64 v[54:55], s[34:35], v[192:193], v[254:255]
	s_mov_b32 s39, 0x3fddbe06
	s_mov_b32 s38, s42
	v_add_f64 v[162:163], v[54:55], v[48:49]
	v_mul_f64 v[48:49], v[66:67], s[38:39]
	v_mul_f64 v[54:55], v[62:63], s[6:7]
	v_fma_f64 v[172:173], v[56:57], s[6:7], -v[48:49]
	v_add_f64 v[164:165], v[172:173], v[164:165]
	v_fma_f64 v[172:173], s[38:39], v[192:193], v[54:55]
	v_add_f64 v[166:167], v[172:173], v[166:167]
	s_barrier
	s_and_saveexec_b64 s[0:1], s[4:5]
	s_cbranch_execz .LBB0_17
; %bb.16:
	v_mul_f64 v[172:173], v[198:199], s[6:7]
	v_accvgpr_write_b32 a62, v172
	v_accvgpr_write_b32 a63, v173
	v_mul_f64 v[172:173], v[222:223], s[42:43]
	v_accvgpr_write_b32 a68, v172
	v_accvgpr_write_b32 a69, v173
	;; [unrolled: 3-line block ×18, first 2 shown]
	v_accvgpr_write_b32 a22, v194
	v_accvgpr_write_b32 a27, v201
	;; [unrolled: 1-line block ×4, first 2 shown]
	v_mul_f64 v[200:201], v[222:223], s[34:35]
	v_accvgpr_write_b32 a85, v173
	v_mul_f64 v[172:173], v[46:47], s[22:23]
	v_accvgpr_write_b32 a18, v182
	v_accvgpr_write_b32 a23, v195
	;; [unrolled: 1-line block ×4, first 2 shown]
	v_mul_f64 v[194:195], v[244:245], s[38:39]
	v_fma_f64 v[202:203], s[24:25], v[206:207], v[200:201]
	v_accvgpr_write_b32 a106, v212
	v_accvgpr_write_b32 a96, v172
	;; [unrolled: 1-line block ×3, first 2 shown]
	s_mov_b32 s43, 0x3fea55e2
	s_mov_b32 s42, s20
	v_accvgpr_write_b32 a19, v183
	v_accvgpr_write_b32 a20, v184
	;; [unrolled: 1-line block ×3, first 2 shown]
	v_mul_f64 v[184:185], v[38:39], s[36:37]
	v_accvgpr_write_b32 a92, v186
	v_fma_f64 v[196:197], s[6:7], v[224:225], v[194:195]
	v_add_f64 v[202:203], v[110:111], v[202:203]
	v_accvgpr_write_b32 a30, v208
	v_accvgpr_write_b32 a107, v213
	v_mul_f64 v[212:213], v[214:215], s[34:35]
	v_accvgpr_write_b32 a34, v218
	v_accvgpr_write_b32 a97, v173
	v_mul_f64 v[172:173], v[64:65], s[44:45]
	v_accvgpr_write_b32 a10, v174
	v_accvgpr_write_b32 a15, v179
	;; [unrolled: 1-line block ×4, first 2 shown]
	v_mul_f64 v[180:181], v[58:59], s[42:43]
	v_accvgpr_write_b32 a93, v187
	v_fma_f64 v[186:187], s[30:31], v[238:239], v[184:185]
	v_add_f64 v[196:197], v[196:197], v[202:203]
	v_accvgpr_write_b32 a98, v170
	v_accvgpr_write_b32 a31, v209
	;; [unrolled: 1-line block ×4, first 2 shown]
	v_mul_f64 v[208:209], v[232:233], s[38:39]
	v_accvgpr_write_b32 a35, v219
	v_accvgpr_write_b32 a36, v220
	;; [unrolled: 1-line block ×3, first 2 shown]
	v_fma_f64 v[218:219], v[198:199], s[24:25], -v[212:213]
	v_accvgpr_write_b32 a104, v172
	v_accvgpr_write_b32 a11, v175
	;; [unrolled: 1-line block ×4, first 2 shown]
	v_mul_f64 v[176:177], v[64:65], s[26:27]
	v_fma_f64 v[182:183], s[16:17], v[36:37], v[180:181]
	v_add_f64 v[186:187], v[186:187], v[196:197]
	v_accvgpr_write_b32 a99, v171
	v_mul_f64 v[170:171], v[248:249], s[36:37]
	v_fma_f64 v[210:211], v[216:217], s[6:7], -v[208:209]
	v_add_f64 v[218:219], v[108:109], v[218:219]
	v_accvgpr_write_b32 a105, v173
	v_mul_f64 v[172:173], v[192:193], s[44:45]
	v_fma_f64 v[178:179], s[18:19], v[52:53], v[176:177]
	v_add_f64 v[182:183], v[182:183], v[186:187]
	v_mul_f64 v[196:197], v[50:51], s[42:43]
	v_accvgpr_write_b32 a0, v204
	v_mov_b32_e32 v169, v205
	v_fma_f64 v[204:205], v[228:229], s[30:31], -v[170:171]
	v_add_f64 v[210:211], v[210:211], v[218:219]
	v_fma_f64 v[174:175], s[22:23], v[62:63], v[172:173]
	v_add_f64 v[178:179], v[178:179], v[182:183]
	v_accvgpr_write_b32 a61, v19
	v_mul_f64 v[182:183], v[60:61], s[26:27]
	v_fma_f64 v[202:203], v[250:251], s[16:17], -v[196:197]
	v_add_f64 v[204:205], v[204:205], v[210:211]
	v_accvgpr_write_b32 a60, v18
	v_accvgpr_write_b32 a59, v17
	;; [unrolled: 1-line block ×3, first 2 shown]
	v_add_f64 v[18:19], v[174:175], v[178:179]
	v_mul_f64 v[178:179], v[66:67], s[44:45]
	v_fma_f64 v[186:187], v[46:47], s[18:19], -v[182:183]
	v_add_f64 v[202:203], v[202:203], v[204:205]
	v_fma_f64 v[174:175], v[56:57], s[22:23], -v[178:179]
	v_add_f64 v[186:187], v[186:187], v[202:203]
	v_add_f64 v[16:17], v[174:175], v[186:187]
	v_fma_f64 v[186:187], v[206:207], s[24:25], -v[200:201]
	v_fma_f64 v[174:175], v[52:53], s[18:19], -v[176:177]
	;; [unrolled: 1-line block ×5, first 2 shown]
	v_add_f64 v[186:187], v[110:111], v[186:187]
	v_add_f64 v[184:185], v[184:185], v[186:187]
	;; [unrolled: 1-line block ×4, first 2 shown]
	v_fma_f64 v[172:173], v[62:63], s[22:23], -v[172:173]
	v_add_f64 v[174:175], v[174:175], v[176:177]
	v_fmac_f64_e32 v[212:213], s[24:25], v[198:199]
	v_add_f64 v[174:175], v[172:173], v[174:175]
	v_fmac_f64_e32 v[208:209], s[6:7], v[216:217]
	;; [unrolled: 2-line block ×4, first 2 shown]
	v_add_f64 v[170:171], v[170:171], v[172:173]
	v_mul_f64 v[202:203], v[222:223], s[36:37]
	v_accvgpr_write_b32 a109, v1
	v_add_f64 v[170:171], v[196:197], v[170:171]
	v_mul_f64 v[196:197], v[244:245], s[44:45]
	v_fma_f64 v[204:205], s[30:31], v[206:207], v[202:203]
	v_accvgpr_write_b32 a108, v0
	v_mul_f64 v[0:1], v[214:215], s[36:37]
	v_accvgpr_write_b32 a2, v2
	v_fmac_f64_e32 v[182:183], s[18:19], v[46:47]
	s_mov_b32 s47, 0x3fcea1e5
	s_mov_b32 s46, s34
	v_mul_f64 v[186:187], v[38:39], s[20:21]
	v_fma_f64 v[200:201], s[22:23], v[224:225], v[196:197]
	v_add_f64 v[204:205], v[110:111], v[204:205]
	v_mul_f64 v[218:219], v[232:233], s[44:45]
	v_accvgpr_write_b32 a3, v3
	v_accvgpr_write_b32 a4, v4
	;; [unrolled: 1-line block ×3, first 2 shown]
	v_fma_f64 v[2:3], v[198:199], s[30:31], -v[0:1]
	v_add_f64 v[170:171], v[182:183], v[170:171]
	v_mul_f64 v[182:183], v[58:59], s[46:47]
	v_fma_f64 v[194:195], s[16:17], v[238:239], v[186:187]
	v_add_f64 v[200:201], v[200:201], v[204:205]
	v_mul_f64 v[210:211], v[248:249], s[20:21]
	v_fma_f64 v[220:221], v[216:217], s[22:23], -v[218:219]
	v_add_f64 v[2:3], v[108:109], v[2:3]
	v_fmac_f64_e32 v[178:179], s[22:23], v[56:57]
	v_mul_f64 v[180:181], v[64:65], s[38:39]
	v_fma_f64 v[184:185], s[24:25], v[36:37], v[182:183]
	v_add_f64 v[194:195], v[194:195], v[200:201]
	v_mul_f64 v[204:205], v[50:51], s[46:47]
	v_fma_f64 v[212:213], v[228:229], s[16:17], -v[210:211]
	v_add_f64 v[2:3], v[220:221], v[2:3]
	v_add_f64 v[172:173], v[178:179], v[170:171]
	v_mul_f64 v[170:171], v[192:193], s[26:27]
	v_fma_f64 v[178:179], s[6:7], v[52:53], v[180:181]
	v_add_f64 v[184:185], v[184:185], v[194:195]
	v_mul_f64 v[194:195], v[60:61], s[38:39]
	v_fma_f64 v[208:209], v[250:251], s[24:25], -v[204:205]
	v_add_f64 v[2:3], v[212:213], v[2:3]
	v_fma_f64 v[176:177], s[18:19], v[62:63], v[170:171]
	v_add_f64 v[178:179], v[178:179], v[184:185]
	v_mul_f64 v[184:185], v[66:67], s[26:27]
	v_fma_f64 v[200:201], v[46:47], s[6:7], -v[194:195]
	v_add_f64 v[2:3], v[208:209], v[2:3]
	v_add_f64 v[178:179], v[176:177], v[178:179]
	v_fma_f64 v[176:177], v[56:57], s[18:19], -v[184:185]
	v_add_f64 v[2:3], v[200:201], v[2:3]
	v_add_f64 v[176:177], v[176:177], v[2:3]
	v_fma_f64 v[2:3], v[62:63], s[18:19], -v[170:171]
	v_fma_f64 v[170:171], v[52:53], s[6:7], -v[180:181]
	;; [unrolled: 1-line block ×6, first 2 shown]
	v_fmac_f64_e32 v[0:1], s[30:31], v[198:199]
	v_add_f64 v[196:197], v[110:111], v[196:197]
	v_fmac_f64_e32 v[218:219], s[22:23], v[216:217]
	v_add_f64 v[0:1], v[108:109], v[0:1]
	v_add_f64 v[186:187], v[186:187], v[196:197]
	v_fmac_f64_e32 v[210:211], s[16:17], v[228:229]
	v_add_f64 v[0:1], v[218:219], v[0:1]
	;; [unrolled: 3-line block ×3, first 2 shown]
	v_mul_f64 v[202:203], v[244:245], s[40:41]
	v_mul_f64 v[208:209], v[222:223], s[26:27]
	v_accvgpr_write_b32 a6, v6
	v_add_f64 v[180:181], v[180:181], v[182:183]
	v_add_f64 v[0:1], v[204:205], v[0:1]
	v_fma_f64 v[204:205], s[30:31], v[224:225], v[202:203]
	v_fma_f64 v[210:211], s[18:19], v[206:207], v[208:209]
	v_accvgpr_write_b32 a7, v7
	v_accvgpr_write_b32 a8, v8
	;; [unrolled: 1-line block ×3, first 2 shown]
	v_fma_f64 v[6:7], v[224:225], s[30:31], -v[202:203]
	v_fma_f64 v[202:203], v[206:207], s[18:19], -v[208:209]
	v_add_f64 v[170:171], v[170:171], v[180:181]
	v_fmac_f64_e32 v[194:195], s[6:7], v[46:47]
	v_mul_f64 v[196:197], v[38:39], s[38:39]
	v_add_f64 v[210:211], v[110:111], v[210:211]
	v_add_f64 v[202:203], v[110:111], v[202:203]
	v_add_f64 v[182:183], v[2:3], v[170:171]
	v_fmac_f64_e32 v[184:185], s[18:19], v[56:57]
	v_add_f64 v[0:1], v[194:195], v[0:1]
	v_mul_f64 v[170:171], v[64:65], s[46:47]
	v_mul_f64 v[194:195], v[58:59], s[28:29]
	v_fma_f64 v[200:201], s[6:7], v[238:239], v[196:197]
	v_add_f64 v[204:205], v[204:205], v[210:211]
	v_add_f64 v[6:7], v[6:7], v[202:203]
	v_fma_f64 v[196:197], v[238:239], s[6:7], -v[196:197]
	v_accvgpr_write_b32 a45, v15
	v_add_f64 v[180:181], v[184:185], v[0:1]
	v_fma_f64 v[184:185], s[24:25], v[52:53], v[170:171]
	v_fma_f64 v[186:187], s[22:23], v[36:37], v[194:195]
	v_add_f64 v[200:201], v[200:201], v[204:205]
	v_add_f64 v[6:7], v[196:197], v[6:7]
	v_accvgpr_write_b32 a44, v14
	v_accvgpr_write_b32 a43, v13
	;; [unrolled: 1-line block ×3, first 2 shown]
	v_mov_b64_e32 v[12:13], v[10:11]
	v_fma_f64 v[10:11], v[52:53], s[24:25], -v[170:171]
	v_fma_f64 v[170:171], v[36:37], s[22:23], -v[194:195]
	v_mul_f64 v[0:1], v[192:193], s[42:43]
	v_add_f64 v[186:187], v[186:187], v[200:201]
	v_mul_f64 v[218:219], v[214:215], s[26:27]
	v_add_f64 v[6:7], v[170:171], v[6:7]
	v_fma_f64 v[2:3], s[16:17], v[62:63], v[0:1]
	v_add_f64 v[184:185], v[184:185], v[186:187]
	v_mul_f64 v[212:213], v[232:233], s[40:41]
	v_fma_f64 v[220:221], v[198:199], s[18:19], -v[218:219]
	v_fma_f64 v[0:1], v[62:63], s[16:17], -v[0:1]
	v_add_f64 v[6:7], v[10:11], v[6:7]
	v_fmac_f64_e32 v[218:219], s[18:19], v[198:199]
	v_add_f64 v[186:187], v[2:3], v[184:185]
	v_mul_f64 v[210:211], v[248:249], s[38:39]
	v_fma_f64 v[184:185], v[216:217], s[30:31], -v[212:213]
	v_add_f64 v[220:221], v[108:109], v[220:221]
	v_add_f64 v[196:197], v[0:1], v[6:7]
	v_fmac_f64_e32 v[212:213], s[30:31], v[216:217]
	v_add_f64 v[0:1], v[108:109], v[218:219]
	v_mul_f64 v[204:205], v[50:51], s[28:29]
	v_add_f64 v[184:185], v[184:185], v[220:221]
	v_fma_f64 v[220:221], v[228:229], s[6:7], -v[210:211]
	v_fmac_f64_e32 v[210:211], s[6:7], v[228:229]
	v_add_f64 v[0:1], v[212:213], v[0:1]
	v_mul_f64 v[200:201], v[60:61], s[46:47]
	v_add_f64 v[184:185], v[220:221], v[184:185]
	v_fma_f64 v[220:221], v[250:251], s[22:23], -v[204:205]
	;; [unrolled: 5-line block ×3, first 2 shown]
	v_fmac_f64_e32 v[200:201], s[24:25], v[46:47]
	v_add_f64 v[0:1], v[204:205], v[0:1]
	v_add_f64 v[184:185], v[220:221], v[184:185]
	v_fma_f64 v[220:221], v[56:57], s[16:17], -v[2:3]
	v_fmac_f64_e32 v[2:3], s[16:17], v[56:57]
	v_add_f64 v[0:1], v[200:201], v[0:1]
	v_mul_f64 v[204:205], v[222:223], s[28:29]
	v_mul_f64 v[4:5], v[192:193], s[34:35]
	;; [unrolled: 1-line block ×3, first 2 shown]
	v_add_f64 v[194:195], v[2:3], v[0:1]
	v_mul_f64 v[0:1], v[192:193], s[36:37]
	s_mov_b32 s27, 0x3fedeba7
	v_mul_f64 v[192:193], v[244:245], s[34:35]
	v_fma_f64 v[202:203], s[22:23], v[206:207], v[204:205]
	v_mul_f64 v[38:39], v[38:39], s[26:27]
	v_fma_f64 v[200:201], s[24:25], v[224:225], v[192:193]
	v_add_f64 v[202:203], v[110:111], v[202:203]
	v_mul_f64 v[58:59], v[58:59], s[38:39]
	v_fma_f64 v[170:171], s[18:19], v[238:239], v[38:39]
	v_add_f64 v[200:201], v[200:201], v[202:203]
	v_mul_f64 v[214:215], v[214:215], s[28:29]
	v_mul_f64 v[6:7], v[64:65], s[20:21]
	v_fma_f64 v[64:65], s[6:7], v[36:37], v[58:59]
	v_add_f64 v[170:171], v[170:171], v[200:201]
	v_mul_f64 v[210:211], v[232:233], s[34:35]
	v_fma_f64 v[218:219], v[198:199], s[22:23], -v[214:215]
	v_fma_f64 v[10:11], s[16:17], v[52:53], v[6:7]
	v_add_f64 v[64:65], v[64:65], v[170:171]
	v_mul_f64 v[170:171], v[248:249], s[26:27]
	v_fma_f64 v[212:213], v[216:217], s[24:25], -v[210:211]
	v_add_f64 v[218:219], v[108:109], v[218:219]
	v_fma_f64 v[2:3], s[30:31], v[62:63], v[0:1]
	v_add_f64 v[10:11], v[10:11], v[64:65]
	v_mul_f64 v[50:51], v[50:51], s[38:39]
	v_fma_f64 v[200:201], v[228:229], s[18:19], -v[170:171]
	v_add_f64 v[212:213], v[212:213], v[218:219]
	v_add_f64 v[202:203], v[2:3], v[10:11]
	v_mul_f64 v[2:3], v[66:67], s[36:37]
	v_mul_f64 v[60:61], v[60:61], s[20:21]
	v_fma_f64 v[66:67], v[250:251], s[6:7], -v[50:51]
	v_add_f64 v[200:201], v[200:201], v[212:213]
	v_fma_f64 v[64:65], v[46:47], s[16:17], -v[60:61]
	v_add_f64 v[66:67], v[66:67], v[200:201]
	;; [unrolled: 2-line block ×3, first 2 shown]
	v_fma_f64 v[6:7], v[52:53], s[16:17], -v[6:7]
	v_fma_f64 v[52:53], v[206:207], s[22:23], -v[204:205]
	v_add_f64 v[200:201], v[10:11], v[64:65]
	v_fma_f64 v[10:11], v[36:37], s[6:7], -v[58:59]
	v_fma_f64 v[36:37], v[238:239], s[18:19], -v[38:39]
	;; [unrolled: 1-line block ×3, first 2 shown]
	v_add_f64 v[52:53], v[110:111], v[52:53]
	v_add_f64 v[38:39], v[38:39], v[52:53]
	;; [unrolled: 1-line block ×4, first 2 shown]
	v_fma_f64 v[0:1], v[62:63], s[30:31], -v[0:1]
	v_add_f64 v[6:7], v[6:7], v[10:11]
	v_fmac_f64_e32 v[214:215], s[22:23], v[198:199]
	v_add_f64 v[38:39], v[0:1], v[6:7]
	v_fmac_f64_e32 v[210:211], s[24:25], v[216:217]
	;; [unrolled: 2-line block ×6, first 2 shown]
	v_add_f64 v[0:1], v[60:61], v[0:1]
	v_add_f64 v[36:37], v[2:3], v[0:1]
	v_accvgpr_read_b32 v2, a104
	v_accvgpr_read_b32 v10, a54
	;; [unrolled: 1-line block ×6, first 2 shown]
	v_add_f64 v[2:3], v[44:45], -v[2:3]
	v_add_f64 v[10:11], v[10:11], -v[14:15]
	v_accvgpr_read_b32 v14, a46
	v_accvgpr_read_b32 v44, a88
	;; [unrolled: 1-line block ×4, first 2 shown]
	v_add_f64 v[0:1], v[54:55], -v[8:9]
	v_accvgpr_read_b32 v8, a100
	v_add_f64 v[44:45], v[14:15], -v[44:45]
	v_accvgpr_read_b32 v9, a101
	v_add_f64 v[44:45], v[110:111], v[44:45]
	v_add_f64 v[8:9], v[236:237], -v[8:9]
	v_add_f64 v[10:11], v[10:11], v[44:45]
	v_add_f64 v[8:9], v[8:9], v[10:11]
	v_accvgpr_read_b32 v10, a50
	v_accvgpr_read_b32 v14, a82
	;; [unrolled: 1-line block ×6, first 2 shown]
	v_add_f64 v[10:11], v[14:15], v[10:11]
	v_accvgpr_read_b32 v14, a78
	v_accvgpr_read_b32 v44, a106
	v_add_f64 v[6:7], v[252:253], -v[6:7]
	v_accvgpr_read_b32 v15, a79
	v_accvgpr_read_b32 v45, a107
	v_add_f64 v[6:7], v[6:7], v[8:9]
	v_accvgpr_read_b32 v8, a86
	v_add_f64 v[44:45], v[14:15], v[44:45]
	v_add_f64 v[2:3], v[2:3], v[6:7]
	v_accvgpr_read_b32 v6, a90
	v_accvgpr_read_b32 v9, a87
	v_add_f64 v[44:45], v[108:109], v[44:45]
	v_add_f64 v[46:47], v[0:1], v[2:3]
	v_accvgpr_read_b32 v2, a96
	;; [unrolled: 4-line block ×3, first 2 shown]
	v_add_f64 v[6:7], v[6:7], v[240:241]
	v_add_f64 v[8:9], v[8:9], v[10:11]
	;; [unrolled: 1-line block ×5, first 2 shown]
	v_accvgpr_read_b32 v6, a52
	v_accvgpr_read_b32 v8, a76
	;; [unrolled: 1-line block ×4, first 2 shown]
	v_add_f64 v[6:7], v[6:7], -v[8:9]
	v_accvgpr_read_b32 v8, a72
	v_accvgpr_read_b32 v10, a92
	;; [unrolled: 1-line block ×4, first 2 shown]
	v_add_f64 v[8:9], v[10:11], -v[8:9]
	v_accvgpr_read_b32 v10, a68
	v_mul_f64 v[208:209], v[56:57], s[6:7]
	v_accvgpr_read_b32 v11, a69
	v_add_f64 v[0:1], v[208:209], v[48:49]
	v_add_f64 v[10:11], v[12:13], -v[10:11]
	v_add_f64 v[44:45], v[0:1], v[2:3]
	v_add_f64 v[0:1], v[254:255], -v[4:5]
	v_accvgpr_read_b32 v4, a80
	v_add_f64 v[10:11], v[110:111], v[10:11]
	v_accvgpr_read_b32 v2, a84
	v_accvgpr_read_b32 v5, a81
	v_add_f64 v[8:9], v[8:9], v[10:11]
	v_accvgpr_read_b32 v3, a85
	v_add_f64 v[4:5], v[226:227], -v[4:5]
	v_add_f64 v[6:7], v[6:7], v[8:9]
	v_add_f64 v[2:3], v[242:243], -v[2:3]
	v_add_f64 v[4:5], v[4:5], v[6:7]
	v_add_f64 v[2:3], v[2:3], v[4:5]
	v_accvgpr_read_b32 v4, a56
	v_accvgpr_read_b32 v6, a70
	v_accvgpr_read_b32 v5, a57
	v_accvgpr_read_b32 v7, a71
	v_add_f64 v[4:5], v[6:7], v[4:5]
	v_accvgpr_read_b32 v6, a48
	v_accvgpr_read_b32 v8, a66
	v_accvgpr_read_b32 v7, a49
	v_accvgpr_read_b32 v9, a67
	v_add_f64 v[6:7], v[8:9], v[6:7]
	v_accvgpr_read_b32 v8, a64
	v_accvgpr_read_b32 v10, a98
	v_accvgpr_read_b32 v9, a65
	v_accvgpr_read_b32 v11, a99
	v_add_f64 v[8:9], v[8:9], v[10:11]
	v_accvgpr_read_b32 v10, a62
	v_accvgpr_read_b32 v48, a108
	v_accvgpr_read_b32 v11, a63
	v_accvgpr_read_b32 v49, a109
	v_add_f64 v[10:11], v[10:11], v[48:49]
	v_add_f64 v[10:11], v[108:109], v[10:11]
	v_add_f64 v[50:51], v[0:1], v[2:3]
	v_accvgpr_read_b32 v2, a74
	v_add_f64 v[8:9], v[8:9], v[10:11]
	v_accvgpr_read_b32 v3, a75
	v_add_f64 v[6:7], v[6:7], v[8:9]
	v_add_f64 v[184:185], v[220:221], v[184:185]
	v_mul_f64 v[220:221], v[56:57], s[24:25]
	v_add_f64 v[2:3], v[2:3], v[234:235]
	v_add_f64 v[4:5], v[4:5], v[6:7]
	;; [unrolled: 1-line block ×29, first 2 shown]
	v_lshlrev_b32_e32 v0, 4, v189
	v_accvgpr_read_b32 v211, a33
	v_accvgpr_read_b32 v12, a42
	;; [unrolled: 1-line block ×5, first 2 shown]
	ds_write_b128 v0, v[52:55]
	ds_write_b128 v0, v[48:51] offset:16
	ds_write_b128 v0, v[44:47] offset:32
	ds_write_b128 v0, v[36:39] offset:48
	ds_write_b128 v0, v[194:197] offset:64
	v_accvgpr_read_b32 v197, a25
	ds_write_b128 v0, v[180:183] offset:80
	ds_write_b128 v0, v[172:175] offset:96
	;; [unrolled: 1-line block ×3, first 2 shown]
	v_accvgpr_read_b32 v16, a58
	ds_write_b128 v0, v[176:179] offset:128
	v_accvgpr_read_b32 v181, a17
	v_accvgpr_read_b32 v177, a13
	ds_write_b128 v0, v[184:187] offset:144
	v_accvgpr_read_b32 v185, a21
	ds_write_b128 v0, v[200:203] offset:160
	v_accvgpr_read_b32 v203, a29
	v_mov_b32_e32 v205, v169
	v_accvgpr_read_b32 v204, a0
	v_accvgpr_read_b32 v210, a32
	;; [unrolled: 1-line block ×34, first 2 shown]
	ds_write_b128 v0, v[164:167] offset:176
	ds_write_b128 v0, v[160:163] offset:192
.LBB0_17:
	s_or_b64 exec, exec, s[0:1]
	s_waitcnt lgkmcnt(0)
	s_barrier
	ds_read_b128 v[108:111], v188
	ds_read_b128 v[36:39], v188 offset:1664
	ds_read_b128 v[44:47], v188 offset:3328
	;; [unrolled: 1-line block ×10, first 2 shown]
	s_waitcnt lgkmcnt(9)
	v_mul_f64 v[124:125], v[14:15], v[38:39]
	v_mul_f64 v[0:1], v[14:15], v[36:37]
	v_fmac_f64_e32 v[124:125], v[12:13], v[36:37]
	v_fma_f64 v[36:37], v[12:13], v[38:39], -v[0:1]
	s_waitcnt lgkmcnt(8)
	v_mul_f64 v[38:39], v[176:177], v[46:47]
	v_mul_f64 v[0:1], v[176:177], v[44:45]
	v_fmac_f64_e32 v[38:39], v[174:175], v[44:45]
	v_fma_f64 v[44:45], v[174:175], v[46:47], -v[0:1]
	s_waitcnt lgkmcnt(7)
	v_mul_f64 v[46:47], v[8:9], v[50:51]
	v_mul_f64 v[0:1], v[8:9], v[48:49]
	v_fmac_f64_e32 v[46:47], v[6:7], v[48:49]
	v_fma_f64 v[48:49], v[6:7], v[50:51], -v[0:1]
	s_waitcnt lgkmcnt(6)
	v_mul_f64 v[8:9], v[4:5], v[54:55]
	v_mul_f64 v[0:1], v[4:5], v[52:53]
	s_waitcnt lgkmcnt(4)
	v_mul_f64 v[4:5], v[26:27], v[62:63]
	v_mul_f64 v[6:7], v[26:27], v[60:61]
	v_fmac_f64_e32 v[4:5], v[24:25], v[60:61]
	v_fma_f64 v[6:7], v[24:25], v[62:63], -v[6:7]
	s_waitcnt lgkmcnt(3)
	v_mul_f64 v[24:25], v[22:23], v[66:67]
	v_mul_f64 v[12:13], v[22:23], v[64:65]
	v_fmac_f64_e32 v[24:25], v[20:21], v[64:65]
	v_fma_f64 v[20:21], v[20:21], v[66:67], -v[12:13]
	;; [unrolled: 5-line block ×3, first 2 shown]
	s_waitcnt lgkmcnt(1)
	v_mul_f64 v[12:13], v[42:43], v[116:117]
	v_fma_f64 v[26:27], v[40:41], v[118:119], -v[12:13]
	s_waitcnt lgkmcnt(0)
	v_mul_f64 v[12:13], v[34:35], v[120:121]
	v_fmac_f64_e32 v[8:9], v[2:3], v[52:53]
	v_fma_f64 v[10:11], v[2:3], v[54:55], -v[0:1]
	v_mul_f64 v[0:1], v[30:31], v[58:59]
	v_mul_f64 v[2:3], v[30:31], v[56:57]
	v_fma_f64 v[30:31], v[32:33], v[122:123], -v[12:13]
	v_add_f64 v[12:13], v[108:109], v[124:125]
	v_add_f64 v[14:15], v[110:111], v[36:37]
	v_add_f64 v[12:13], v[12:13], v[38:39]
	v_add_f64 v[14:15], v[14:15], v[44:45]
	v_add_f64 v[12:13], v[12:13], v[46:47]
	v_fmac_f64_e32 v[0:1], v[28:29], v[56:57]
	v_add_f64 v[14:15], v[14:15], v[48:49]
	v_add_f64 v[12:13], v[12:13], v[8:9]
	v_fma_f64 v[2:3], v[28:29], v[58:59], -v[2:3]
	v_add_f64 v[14:15], v[14:15], v[10:11]
	v_add_f64 v[12:13], v[12:13], v[0:1]
	;; [unrolled: 1-line block ×4, first 2 shown]
	v_mul_f64 v[18:19], v[42:43], v[118:119]
	v_add_f64 v[14:15], v[14:15], v[6:7]
	v_add_f64 v[12:13], v[12:13], v[24:25]
	v_fmac_f64_e32 v[18:19], v[40:41], v[116:117]
	v_mul_f64 v[28:29], v[34:35], v[122:123]
	v_add_f64 v[14:15], v[14:15], v[20:21]
	v_add_f64 v[12:13], v[12:13], v[22:23]
	s_mov_b32 s24, 0x8764f0ba
	s_mov_b32 s16, 0xd9c712b6
	;; [unrolled: 1-line block ×5, first 2 shown]
	v_fmac_f64_e32 v[28:29], v[32:33], v[120:121]
	v_add_f64 v[14:15], v[14:15], v[16:17]
	v_add_f64 v[12:13], v[12:13], v[18:19]
	;; [unrolled: 1-line block ×3, first 2 shown]
	s_mov_b32 s25, 0x3feaeb8c
	s_mov_b32 s17, 0x3fda9628
	;; [unrolled: 1-line block ×6, first 2 shown]
	v_add_f64 v[14:15], v[14:15], v[26:27]
	v_add_f64 v[12:13], v[12:13], v[28:29]
	;; [unrolled: 1-line block ×3, first 2 shown]
	v_add_f64 v[28:29], v[124:125], -v[28:29]
	s_mov_b32 s22, 0xf8bb580b
	v_mul_f64 v[42:43], v[34:35], s[24:25]
	s_mov_b32 s6, 0x8eee2c13
	v_mul_f64 v[56:57], v[34:35], s[16:17]
	;; [unrolled: 2-line block ×5, first 2 shown]
	s_mov_b32 s43, 0x3fd207e7
	s_mov_b32 s42, s38
	v_add_f64 v[14:15], v[14:15], v[30:31]
	v_add_f64 v[30:31], v[36:37], -v[30:31]
	s_mov_b32 s23, 0xbfe14ced
	s_mov_b32 s27, 0x3fe14ced
	s_mov_b32 s26, s22
	s_mov_b32 s7, 0xbfed1bb4
	s_mov_b32 s19, 0x3fed1bb4
	s_mov_b32 s18, s6
	s_mov_b32 s1, 0xbfefac9e
	s_mov_b32 s29, 0x3fefac9e
	s_mov_b32 s28, s0
	s_mov_b32 s31, 0xbfe82f19
	s_mov_b32 s37, 0x3fe82f19
	s_mov_b32 s36, s30
	v_fma_f64 v[122:123], s[42:43], v[28:29], v[34:35]
	v_fmac_f64_e32 v[34:35], s[38:39], v[28:29]
	v_mul_f64 v[36:37], v[30:31], s[22:23]
	v_fma_f64 v[50:51], s[26:27], v[28:29], v[42:43]
	v_fmac_f64_e32 v[42:43], s[22:23], v[28:29]
	v_mul_f64 v[52:53], v[30:31], s[6:7]
	;; [unrolled: 3-line block ×5, first 2 shown]
	v_add_f64 v[28:29], v[110:111], v[34:35]
	v_add_f64 v[34:35], v[44:45], v[26:27]
	v_add_f64 v[26:27], v[44:45], -v[26:27]
	v_fma_f64 v[40:41], s[24:25], v[32:33], v[36:37]
	v_fma_f64 v[36:37], v[32:33], s[24:25], -v[36:37]
	v_fma_f64 v[54:55], s[16:17], v[32:33], v[52:53]
	v_fma_f64 v[52:53], v[32:33], s[16:17], -v[52:53]
	;; [unrolled: 2-line block ×5, first 2 shown]
	v_add_f64 v[32:33], v[38:39], v[18:19]
	v_add_f64 v[18:19], v[38:39], -v[18:19]
	v_mul_f64 v[38:39], v[26:27], s[6:7]
	v_add_f64 v[40:41], v[108:109], v[40:41]
	v_fma_f64 v[44:45], s[16:17], v[32:33], v[38:39]
	v_add_f64 v[40:41], v[44:45], v[40:41]
	v_mul_f64 v[44:45], v[34:35], s[16:17]
	v_add_f64 v[36:37], v[108:109], v[36:37]
	v_add_f64 v[42:43], v[110:111], v[42:43]
	;; [unrolled: 1-line block ×10, first 2 shown]
	v_fma_f64 v[108:109], s[18:19], v[18:19], v[44:45]
	v_fma_f64 v[38:39], v[32:33], s[16:17], -v[38:39]
	v_fmac_f64_e32 v[44:45], s[6:7], v[18:19]
	v_add_f64 v[36:37], v[38:39], v[36:37]
	v_add_f64 v[38:39], v[44:45], v[42:43]
	v_mul_f64 v[42:43], v[26:27], s[30:31]
	v_fma_f64 v[44:45], s[34:35], v[32:33], v[42:43]
	v_add_f64 v[50:51], v[110:111], v[50:51]
	v_add_f64 v[44:45], v[44:45], v[54:55]
	v_mul_f64 v[54:55], v[34:35], s[34:35]
	v_add_f64 v[56:57], v[110:111], v[56:57]
	v_add_f64 v[50:51], v[108:109], v[50:51]
	v_fma_f64 v[108:109], s[36:37], v[18:19], v[54:55]
	v_fma_f64 v[42:43], v[32:33], s[34:35], -v[42:43]
	v_fmac_f64_e32 v[54:55], s[30:31], v[18:19]
	v_add_f64 v[42:43], v[42:43], v[52:53]
	v_add_f64 v[52:53], v[54:55], v[56:57]
	v_mul_f64 v[54:55], v[26:27], s[42:43]
	v_fma_f64 v[56:57], s[40:41], v[32:33], v[54:55]
	v_add_f64 v[58:59], v[110:111], v[58:59]
	v_add_f64 v[56:57], v[56:57], v[62:63]
	v_mul_f64 v[62:63], v[34:35], s[40:41]
	v_add_f64 v[64:65], v[110:111], v[64:65]
	v_add_f64 v[58:59], v[108:109], v[58:59]
	v_fma_f64 v[108:109], s[38:39], v[18:19], v[62:63]
	v_fma_f64 v[54:55], v[32:33], s[40:41], -v[54:55]
	v_fmac_f64_e32 v[62:63], s[42:43], v[18:19]
	v_add_f64 v[54:55], v[54:55], v[60:61]
	v_add_f64 v[60:61], v[62:63], v[64:65]
	v_mul_f64 v[62:63], v[26:27], s[28:29]
	v_add_f64 v[66:67], v[110:111], v[66:67]
	v_fma_f64 v[64:65], s[20:21], v[32:33], v[62:63]
	v_fma_f64 v[62:63], v[32:33], s[20:21], -v[62:63]
	v_mul_f64 v[26:27], v[26:27], s[26:27]
	v_add_f64 v[66:67], v[108:109], v[66:67]
	v_mul_f64 v[108:109], v[34:35], s[20:21]
	v_add_f64 v[62:63], v[62:63], v[112:113]
	v_fma_f64 v[112:113], s[24:25], v[32:33], v[26:27]
	v_mul_f64 v[34:35], v[34:35], s[24:25]
	v_fma_f64 v[26:27], v[32:33], s[24:25], -v[26:27]
	v_add_f64 v[64:65], v[64:65], v[114:115]
	v_fma_f64 v[114:115], s[22:23], v[18:19], v[34:35]
	v_add_f64 v[26:27], v[26:27], v[30:31]
	v_fmac_f64_e32 v[34:35], s[26:27], v[18:19]
	v_add_f64 v[30:31], v[48:49], v[16:17]
	v_add_f64 v[16:17], v[48:49], -v[16:17]
	v_add_f64 v[118:119], v[110:111], v[118:119]
	v_add_f64 v[116:117], v[110:111], v[116:117]
	;; [unrolled: 1-line block ×3, first 2 shown]
	v_fma_f64 v[110:111], s[0:1], v[18:19], v[108:109]
	v_fmac_f64_e32 v[108:109], s[28:29], v[18:19]
	v_add_f64 v[18:19], v[34:35], v[28:29]
	v_add_f64 v[28:29], v[46:47], v[22:23]
	v_mul_f64 v[32:33], v[16:17], s[0:1]
	v_fma_f64 v[34:35], s[20:21], v[28:29], v[32:33]
	v_add_f64 v[22:23], v[46:47], -v[22:23]
	v_add_f64 v[34:35], v[34:35], v[40:41]
	v_mul_f64 v[40:41], v[30:31], s[20:21]
	v_fma_f64 v[46:47], s[28:29], v[22:23], v[40:41]
	v_fma_f64 v[32:33], v[28:29], s[20:21], -v[32:33]
	v_fmac_f64_e32 v[40:41], s[0:1], v[22:23]
	v_add_f64 v[32:33], v[32:33], v[36:37]
	v_add_f64 v[36:37], v[40:41], v[38:39]
	v_mul_f64 v[38:39], v[16:17], s[42:43]
	v_fma_f64 v[40:41], s[40:41], v[28:29], v[38:39]
	v_add_f64 v[40:41], v[40:41], v[44:45]
	v_mul_f64 v[44:45], v[30:31], s[40:41]
	v_fma_f64 v[48:49], s[38:39], v[22:23], v[44:45]
	v_fma_f64 v[38:39], v[28:29], s[40:41], -v[38:39]
	v_fmac_f64_e32 v[44:45], s[42:43], v[22:23]
	v_add_f64 v[38:39], v[38:39], v[42:43]
	v_add_f64 v[42:43], v[44:45], v[52:53]
	v_mul_f64 v[44:45], v[16:17], s[18:19]
	v_add_f64 v[46:47], v[46:47], v[50:51]
	v_fma_f64 v[50:51], s[16:17], v[28:29], v[44:45]
	v_fma_f64 v[44:45], v[28:29], s[16:17], -v[44:45]
	v_add_f64 v[44:45], v[44:45], v[54:55]
	v_mul_f64 v[54:55], v[16:17], s[22:23]
	v_add_f64 v[48:49], v[48:49], v[58:59]
	v_mul_f64 v[52:53], v[30:31], s[16:17]
	v_fma_f64 v[58:59], s[24:25], v[28:29], v[54:55]
	v_fma_f64 v[54:55], v[28:29], s[24:25], -v[54:55]
	v_mul_f64 v[16:17], v[16:17], s[30:31]
	v_add_f64 v[50:51], v[50:51], v[56:57]
	v_fma_f64 v[56:57], s[6:7], v[22:23], v[52:53]
	v_fmac_f64_e32 v[52:53], s[18:19], v[22:23]
	v_add_f64 v[54:55], v[54:55], v[62:63]
	v_fma_f64 v[62:63], s[34:35], v[28:29], v[16:17]
	v_fma_f64 v[16:17], v[28:29], s[34:35], -v[16:17]
	v_add_f64 v[52:53], v[52:53], v[60:61]
	v_mul_f64 v[60:61], v[30:31], s[24:25]
	v_mul_f64 v[30:31], v[30:31], s[34:35]
	v_add_f64 v[16:17], v[16:17], v[26:27]
	v_add_f64 v[26:27], v[10:11], v[20:21]
	v_add_f64 v[10:11], v[10:11], -v[20:21]
	v_add_f64 v[56:57], v[56:57], v[66:67]
	v_add_f64 v[58:59], v[58:59], v[64:65]
	v_fma_f64 v[64:65], s[26:27], v[22:23], v[60:61]
	v_fmac_f64_e32 v[60:61], s[22:23], v[22:23]
	v_fma_f64 v[66:67], s[36:37], v[22:23], v[30:31]
	v_fmac_f64_e32 v[30:31], s[30:31], v[22:23]
	v_add_f64 v[22:23], v[8:9], v[24:25]
	v_mul_f64 v[20:21], v[10:11], s[30:31]
	v_add_f64 v[8:9], v[8:9], -v[24:25]
	v_fma_f64 v[24:25], s[34:35], v[22:23], v[20:21]
	v_mul_f64 v[28:29], v[26:27], s[34:35]
	v_fma_f64 v[20:21], v[22:23], s[34:35], -v[20:21]
	v_add_f64 v[18:19], v[30:31], v[18:19]
	v_fma_f64 v[30:31], s[36:37], v[8:9], v[28:29]
	v_add_f64 v[20:21], v[20:21], v[32:33]
	v_fmac_f64_e32 v[28:29], s[30:31], v[8:9]
	v_mul_f64 v[32:33], v[10:11], s[28:29]
	v_add_f64 v[24:25], v[24:25], v[34:35]
	v_add_f64 v[28:29], v[28:29], v[36:37]
	v_fma_f64 v[34:35], s[20:21], v[22:23], v[32:33]
	v_mul_f64 v[36:37], v[26:27], s[20:21]
	v_fma_f64 v[32:33], v[22:23], s[20:21], -v[32:33]
	v_add_f64 v[30:31], v[30:31], v[46:47]
	v_add_f64 v[34:35], v[34:35], v[40:41]
	v_fma_f64 v[40:41], s[0:1], v[8:9], v[36:37]
	v_add_f64 v[32:33], v[32:33], v[38:39]
	v_fmac_f64_e32 v[36:37], s[28:29], v[8:9]
	v_mul_f64 v[38:39], v[10:11], s[22:23]
	v_mul_f64 v[46:47], v[26:27], s[24:25]
	v_add_f64 v[40:41], v[40:41], v[48:49]
	v_add_f64 v[36:37], v[36:37], v[42:43]
	v_fma_f64 v[42:43], s[24:25], v[22:23], v[38:39]
	v_fma_f64 v[48:49], s[26:27], v[8:9], v[46:47]
	v_fma_f64 v[38:39], v[22:23], s[24:25], -v[38:39]
	v_fmac_f64_e32 v[46:47], s[22:23], v[8:9]
	v_add_f64 v[110:111], v[110:111], v[118:119]
	v_add_f64 v[38:39], v[38:39], v[44:45]
	;; [unrolled: 1-line block ×3, first 2 shown]
	v_mul_f64 v[46:47], v[10:11], s[38:39]
	v_mul_f64 v[52:53], v[26:27], s[40:41]
	v_add_f64 v[108:109], v[108:109], v[116:117]
	v_add_f64 v[114:115], v[114:115], v[122:123]
	;; [unrolled: 1-line block ×5, first 2 shown]
	v_fma_f64 v[50:51], s[40:41], v[22:23], v[46:47]
	v_fma_f64 v[56:57], s[42:43], v[8:9], v[52:53]
	v_mul_f64 v[26:27], v[26:27], s[16:17]
	v_add_f64 v[110:111], v[2:3], -v[6:7]
	v_add_f64 v[60:61], v[60:61], v[108:109]
	v_add_f64 v[66:67], v[66:67], v[114:115]
	;; [unrolled: 1-line block ×4, first 2 shown]
	v_fma_f64 v[46:47], v[22:23], s[40:41], -v[46:47]
	v_mul_f64 v[10:11], v[10:11], s[18:19]
	v_fma_f64 v[58:59], s[6:7], v[8:9], v[26:27]
	v_add_f64 v[64:65], v[0:1], v[4:5]
	v_add_f64 v[108:109], v[0:1], -v[4:5]
	v_mul_f64 v[0:1], v[110:111], s[38:39]
	v_add_f64 v[46:47], v[46:47], v[54:55]
	v_fmac_f64_e32 v[52:53], s[38:39], v[8:9]
	v_fma_f64 v[54:55], s[16:17], v[22:23], v[10:11]
	v_add_f64 v[58:59], v[58:59], v[66:67]
	v_fma_f64 v[10:11], v[22:23], s[16:17], -v[10:11]
	v_add_f64 v[66:67], v[2:3], v[6:7]
	v_fma_f64 v[2:3], s[40:41], v[64:65], v[0:1]
	v_add_f64 v[112:113], v[112:113], v[120:121]
	v_add_f64 v[52:53], v[52:53], v[60:61]
	;; [unrolled: 1-line block ×4, first 2 shown]
	v_mul_f64 v[2:3], v[66:67], s[40:41]
	v_add_f64 v[62:63], v[62:63], v[112:113]
	v_fmac_f64_e32 v[26:27], s[18:19], v[8:9]
	v_fma_f64 v[4:5], s[42:43], v[108:109], v[2:3]
	v_fma_f64 v[0:1], v[64:65], s[40:41], -v[0:1]
	v_add_f64 v[54:55], v[54:55], v[62:63]
	v_add_f64 v[62:63], v[26:27], v[18:19]
	;; [unrolled: 1-line block ×4, first 2 shown]
	v_fmac_f64_e32 v[2:3], s[38:39], v[108:109]
	v_mul_f64 v[0:1], v[110:111], s[26:27]
	v_add_f64 v[6:7], v[2:3], v[28:29]
	v_fma_f64 v[2:3], s[24:25], v[64:65], v[0:1]
	v_add_f64 v[20:21], v[2:3], v[34:35]
	v_mul_f64 v[2:3], v[66:67], s[24:25]
	v_fma_f64 v[8:9], s[22:23], v[108:109], v[2:3]
	v_fma_f64 v[0:1], v[64:65], s[24:25], -v[0:1]
	v_add_f64 v[22:23], v[8:9], v[40:41]
	v_add_f64 v[8:9], v[0:1], v[32:33]
	v_fmac_f64_e32 v[2:3], s[26:27], v[108:109]
	v_mul_f64 v[0:1], v[110:111], s[30:31]
	v_add_f64 v[10:11], v[2:3], v[36:37]
	v_fma_f64 v[2:3], s[34:35], v[64:65], v[0:1]
	v_add_f64 v[24:25], v[2:3], v[42:43]
	v_mul_f64 v[2:3], v[66:67], s[34:35]
	v_fma_f64 v[0:1], v[64:65], s[34:35], -v[0:1]
	v_mul_f64 v[32:33], v[110:111], s[18:19]
	v_mul_f64 v[34:35], v[66:67], s[16:17]
	;; [unrolled: 1-line block ×4, first 2 shown]
	v_fma_f64 v[26:27], s[36:37], v[108:109], v[2:3]
	v_add_f64 v[0:1], v[0:1], v[38:39]
	v_fma_f64 v[28:29], s[16:17], v[64:65], v[32:33]
	v_fma_f64 v[30:31], s[6:7], v[108:109], v[34:35]
	v_fma_f64 v[32:33], v[64:65], s[16:17], -v[32:33]
	v_fmac_f64_e32 v[34:35], s[18:19], v[108:109]
	v_fma_f64 v[36:37], s[20:21], v[64:65], v[40:41]
	v_fma_f64 v[38:39], s[28:29], v[108:109], v[42:43]
	v_fma_f64 v[40:41], v[64:65], s[20:21], -v[40:41]
	v_fmac_f64_e32 v[42:43], s[0:1], v[108:109]
	v_add_f64 v[26:27], v[26:27], v[48:49]
	v_fmac_f64_e32 v[2:3], s[30:31], v[108:109]
	v_add_f64 v[28:29], v[28:29], v[50:51]
	v_add_f64 v[30:31], v[30:31], v[56:57]
	;; [unrolled: 1-line block ×9, first 2 shown]
	s_barrier
	ds_write_b128 v168, v[12:15]
	ds_write_b128 v168, v[16:19] offset:208
	ds_write_b128 v168, v[20:23] offset:416
	;; [unrolled: 1-line block ×10, first 2 shown]
	s_waitcnt lgkmcnt(0)
	s_barrier
	ds_read_b128 v[12:15], v188
	ds_read_b128 v[108:111], v188 offset:2288
	ds_read_b128 v[40:43], v188 offset:4576
	;; [unrolled: 1-line block ×7, first 2 shown]
	s_and_saveexec_b64 s[0:1], s[2:3]
	s_cbranch_execz .LBB0_19
; %bb.18:
	ds_read_b128 v[0:3], v188 offset:1664
	ds_read_b128 v[8:11], v188 offset:3952
	;; [unrolled: 1-line block ×8, first 2 shown]
.LBB0_19:
	s_or_b64 exec, exec, s[0:1]
	s_waitcnt lgkmcnt(5)
	v_mul_f64 v[44:45], v[78:79], v[42:43]
	v_fmac_f64_e32 v[44:45], v[76:77], v[40:41]
	v_mul_f64 v[40:41], v[78:79], v[40:41]
	v_fma_f64 v[40:41], v[76:77], v[42:43], -v[40:41]
	s_waitcnt lgkmcnt(4)
	v_mul_f64 v[42:43], v[74:75], v[34:35]
	v_fmac_f64_e32 v[42:43], v[72:73], v[32:33]
	v_mul_f64 v[32:33], v[74:75], v[32:33]
	v_fma_f64 v[32:33], v[72:73], v[34:35], -v[32:33]
	;; [unrolled: 5-line block ×5, first 2 shown]
	s_waitcnt lgkmcnt(0)
	v_mul_f64 v[22:23], v[86:87], v[18:19]
	v_mul_f64 v[36:37], v[82:83], v[110:111]
	;; [unrolled: 1-line block ×3, first 2 shown]
	v_fmac_f64_e32 v[22:23], v[84:85], v[16:17]
	v_mul_f64 v[16:17], v[86:87], v[16:17]
	v_fmac_f64_e32 v[36:37], v[80:81], v[108:109]
	v_fma_f64 v[38:39], v[80:81], v[110:111], -v[38:39]
	v_fma_f64 v[16:17], v[84:85], v[18:19], -v[16:17]
	v_add_f64 v[18:19], v[12:13], -v[34:35]
	v_add_f64 v[28:29], v[14:15], -v[28:29]
	;; [unrolled: 1-line block ×8, first 2 shown]
	v_fma_f64 v[12:13], v[12:13], 2.0, -v[18:19]
	v_fma_f64 v[14:15], v[14:15], 2.0, -v[28:29]
	;; [unrolled: 1-line block ×8, first 2 shown]
	v_add_f64 v[48:49], v[18:19], v[20:21]
	v_add_f64 v[50:51], v[28:29], -v[26:27]
	v_add_f64 v[52:53], v[30:31], v[16:17]
	v_add_f64 v[54:55], v[24:25], -v[22:23]
	s_mov_b32 s0, 0x667f3bcd
	v_add_f64 v[34:35], v[12:13], -v[34:35]
	v_add_f64 v[40:41], v[14:15], -v[40:41]
	v_fma_f64 v[26:27], v[18:19], 2.0, -v[48:49]
	v_fma_f64 v[28:29], v[28:29], 2.0, -v[50:51]
	v_add_f64 v[42:43], v[36:37], -v[42:43]
	v_add_f64 v[32:33], v[38:39], -v[32:33]
	v_fma_f64 v[30:31], v[30:31], 2.0, -v[52:53]
	v_fma_f64 v[24:25], v[24:25], 2.0, -v[54:55]
	s_mov_b32 s1, 0xbfe6a09e
	v_fma_f64 v[44:45], v[12:13], 2.0, -v[34:35]
	v_fma_f64 v[46:47], v[14:15], 2.0, -v[40:41]
	;; [unrolled: 1-line block ×4, first 2 shown]
	v_fma_f64 v[20:21], s[0:1], v[30:31], v[26:27]
	v_fma_f64 v[22:23], s[0:1], v[24:25], v[28:29]
	s_mov_b32 s7, 0x3fe6a09e
	s_mov_b32 s6, s0
	v_add_f64 v[12:13], v[44:45], -v[12:13]
	v_add_f64 v[14:15], v[46:47], -v[14:15]
	v_fmac_f64_e32 v[20:21], s[6:7], v[24:25]
	v_fmac_f64_e32 v[22:23], s[0:1], v[30:31]
	v_fma_f64 v[36:37], s[6:7], v[52:53], v[48:49]
	v_fma_f64 v[38:39], s[6:7], v[54:55], v[50:51]
	v_fma_f64 v[16:17], v[44:45], 2.0, -v[12:13]
	v_fma_f64 v[18:19], v[46:47], 2.0, -v[14:15]
	v_fma_f64 v[24:25], v[26:27], 2.0, -v[20:21]
	v_fma_f64 v[26:27], v[28:29], 2.0, -v[22:23]
	v_add_f64 v[28:29], v[34:35], v[32:33]
	v_add_f64 v[30:31], v[40:41], -v[42:43]
	v_fmac_f64_e32 v[36:37], s[6:7], v[54:55]
	v_fmac_f64_e32 v[38:39], s[0:1], v[52:53]
	v_fma_f64 v[32:33], v[34:35], 2.0, -v[28:29]
	v_fma_f64 v[34:35], v[40:41], 2.0, -v[30:31]
	;; [unrolled: 1-line block ×4, first 2 shown]
	ds_write_b128 v188, v[16:19]
	ds_write_b128 v188, v[24:27] offset:2288
	ds_write_b128 v188, v[32:35] offset:4576
	;; [unrolled: 1-line block ×7, first 2 shown]
	s_and_saveexec_b64 s[16:17], s[2:3]
	s_cbranch_execz .LBB0_21
; %bb.20:
	v_mul_f64 v[12:13], v[180:181], v[160:161]
	v_fma_f64 v[12:13], v[178:179], v[162:163], -v[12:13]
	v_add_f64 v[18:19], v[2:3], -v[12:13]
	v_mul_f64 v[14:15], v[184:185], v[6:7]
	v_mul_f64 v[12:13], v[210:211], v[102:103]
	v_fmac_f64_e32 v[14:15], v[182:183], v[4:5]
	v_fmac_f64_e32 v[12:13], v[208:209], v[100:101]
	v_add_f64 v[20:21], v[14:15], -v[12:13]
	v_mul_f64 v[12:13], v[196:197], v[8:9]
	v_fma_f64 v[24:25], v[194:195], v[10:11], -v[12:13]
	v_mul_f64 v[12:13], v[220:221], v[96:97]
	v_accvgpr_read_b32 v36, a38
	v_fma_f64 v[12:13], v[218:219], v[98:99], -v[12:13]
	v_accvgpr_read_b32 v38, a40
	v_accvgpr_read_b32 v39, a41
	v_add_f64 v[26:27], v[24:25], -v[12:13]
	v_accvgpr_read_b32 v37, a39
	v_mul_f64 v[12:13], v[38:39], v[106:107]
	v_mul_f64 v[34:35], v[38:39], v[104:105]
	;; [unrolled: 1-line block ×3, first 2 shown]
	v_fmac_f64_e32 v[12:13], v[36:37], v[104:105]
	v_fma_f64 v[34:35], v[36:37], v[106:107], -v[34:35]
	v_mul_f64 v[36:37], v[196:197], v[10:11]
	v_mul_f64 v[4:5], v[184:185], v[4:5]
	v_fmac_f64_e32 v[16:17], v[200:201], v[164:165]
	v_mul_f64 v[32:33], v[202:203], v[164:165]
	v_fmac_f64_e32 v[36:37], v[194:195], v[8:9]
	v_mul_f64 v[8:9], v[220:221], v[98:99]
	v_fma_f64 v[4:5], v[182:183], v[6:7], -v[4:5]
	v_mul_f64 v[6:7], v[210:211], v[100:101]
	v_add_f64 v[28:29], v[16:17], -v[12:13]
	v_fma_f64 v[32:33], v[200:201], v[166:167], -v[32:33]
	v_fmac_f64_e32 v[8:9], v[218:219], v[96:97]
	v_fma_f64 v[6:7], v[208:209], v[102:103], -v[6:7]
	v_add_f64 v[22:23], v[18:19], -v[20:21]
	v_add_f64 v[30:31], v[26:27], -v[28:29]
	;; [unrolled: 1-line block ×5, first 2 shown]
	v_mul_f64 v[6:7], v[180:181], v[162:163]
	v_fma_f64 v[12:13], s[6:7], v[30:31], v[22:23]
	v_add_f64 v[40:41], v[34:35], v[38:39]
	v_fmac_f64_e32 v[6:7], v[178:179], v[160:161]
	v_fmac_f64_e32 v[12:13], s[0:1], v[40:41]
	v_add_f64 v[44:45], v[0:1], -v[6:7]
	v_fma_f64 v[48:49], v[2:3], 2.0, -v[18:19]
	v_fma_f64 v[2:3], v[4:5], 2.0, -v[42:43]
	;; [unrolled: 1-line block ×3, first 2 shown]
	v_add_f64 v[46:47], v[42:43], v[44:45]
	v_add_f64 v[4:5], v[48:49], -v[2:3]
	v_fma_f64 v[36:37], v[36:37], 2.0, -v[38:39]
	v_fma_f64 v[2:3], v[16:17], 2.0, -v[28:29]
	;; [unrolled: 1-line block ×6, first 2 shown]
	v_fma_f64 v[10:11], s[6:7], v[40:41], v[46:47]
	v_add_f64 v[42:43], v[36:37], -v[2:3]
	v_add_f64 v[52:53], v[50:51], -v[0:1]
	v_fma_f64 v[28:29], v[24:25], 2.0, -v[26:27]
	v_fma_f64 v[0:1], v[32:33], 2.0, -v[34:35]
	v_fma_f64 v[20:21], s[0:1], v[22:23], v[18:19]
	v_fma_f64 v[26:27], v[38:39], 2.0, -v[40:41]
	v_fmac_f64_e32 v[10:11], s[6:7], v[30:31]
	v_add_f64 v[2:3], v[4:5], -v[42:43]
	v_add_f64 v[32:33], v[28:29], -v[0:1]
	v_fmac_f64_e32 v[20:21], s[0:1], v[26:27]
	v_fma_f64 v[30:31], v[44:45], 2.0, -v[46:47]
	v_fma_f64 v[16:17], v[4:5], 2.0, -v[2:3]
	;; [unrolled: 1-line block ×3, first 2 shown]
	v_fma_f64 v[18:19], s[0:1], v[26:27], v[30:31]
	v_fma_f64 v[4:5], v[48:49], 2.0, -v[4:5]
	v_fma_f64 v[26:27], v[28:29], 2.0, -v[32:33]
	v_add_f64 v[28:29], v[4:5], -v[26:27]
	v_add_f64 v[0:1], v[52:53], v[32:33]
	v_fma_f64 v[32:33], v[4:5], 2.0, -v[28:29]
	v_fma_f64 v[4:5], v[50:51], 2.0, -v[52:53]
	;; [unrolled: 1-line block ×3, first 2 shown]
	v_fmac_f64_e32 v[18:19], s[6:7], v[22:23]
	v_add_f64 v[26:27], v[4:5], -v[26:27]
	v_fma_f64 v[22:23], v[30:31], 2.0, -v[18:19]
	v_fma_f64 v[30:31], v[4:5], 2.0, -v[26:27]
	;; [unrolled: 1-line block ×4, first 2 shown]
	ds_write_b128 v188, v[30:33] offset:1664
	ds_write_b128 v188, v[22:25] offset:3952
	;; [unrolled: 1-line block ×8, first 2 shown]
.LBB0_21:
	s_or_b64 exec, exec, s[16:17]
	s_waitcnt lgkmcnt(0)
	s_barrier
	s_and_b64 exec, exec, s[4:5]
	s_cbranch_execz .LBB0_23
; %bb.22:
	global_load_dwordx4 v[0:3], v188, s[14:15]
	global_load_dwordx4 v[4:7], v188, s[14:15] offset:1408
	global_load_dwordx4 v[8:11], v188, s[14:15] offset:2816
	v_mov_b32_e32 v189, 0
	s_movk_i32 s0, 0x1000
	v_lshl_add_u64 v[40:41], s[14:15], 0, v[188:189]
	v_add_co_u32_e32 v20, vcc, s0, v40
	v_mad_u64_u32 v[46:47], s[2:3], s8, v205, 0
	s_nop 0
	v_addc_co_u32_e32 v21, vcc, 0, v41, vcc
	global_load_dwordx4 v[12:15], v[20:21], off offset:128
	global_load_dwordx4 v[16:19], v[20:21], off offset:1536
	ds_read_b128 v[28:31], v188
	ds_read_b128 v[24:27], v188 offset:1408
	global_load_dwordx4 v[20:23], v[20:21], off offset:2944
	s_movk_i32 s3, 0x2000
	v_add_co_u32_e32 v72, vcc, s3, v40
	ds_read_b128 v[36:39], v188 offset:2816
	ds_read_b128 v[32:35], v188 offset:4224
	v_addc_co_u32_e32 v73, vcc, 0, v41, vcc
	global_load_dwordx4 v[52:55], v[72:73], off offset:256
	v_mad_u64_u32 v[44:45], s[0:1], s10, v204, 0
	v_mov_b32_e32 v56, v45
	v_mov_b32_e32 v58, v47
	v_mad_u64_u32 v[60:61], s[4:5], s11, v204, v[56:57]
	v_mad_u64_u32 v[62:63], s[4:5], s9, v205, v[58:59]
	global_load_dwordx4 v[56:59], v[72:73], off offset:1664
	s_movk_i32 s6, 0x3000
	v_add_co_u32_e32 v74, vcc, s6, v40
	ds_read_b128 v[48:51], v188 offset:16896
	s_nop 0
	v_addc_co_u32_e32 v75, vcc, 0, v41, vcc
	v_mov_b32_e32 v45, v60
	v_mov_b32_e32 v47, v62
	global_load_dwordx4 v[60:63], v[72:73], off offset:3072
	global_load_dwordx4 v[64:67], v[74:75], off offset:384
	;; [unrolled: 1-line block ×3, first 2 shown]
	v_mov_b32_e32 v42, s12
	v_mov_b32_e32 v43, s13
	v_lshl_add_u64 v[42:43], v[44:45], 4, v[42:43]
	v_mov_b32_e32 v80, 0x580
	v_lshl_add_u64 v[42:43], v[46:47], 4, v[42:43]
	s_mov_b32 s0, 0x55ee191
	s_mul_i32 s2, s9, 0x580
	v_mad_u64_u32 v[44:45], s[4:5], s8, v80, v[42:43]
	s_mov_b32 s1, 0x3f4ca4b3
	v_add_u32_e32 v45, s2, v45
	v_mad_u64_u32 v[46:47], s[4:5], s8, v80, v[44:45]
	v_add_u32_e32 v47, s2, v47
	s_movk_i32 s3, 0x4000
	s_waitcnt vmcnt(10) lgkmcnt(4)
	v_mul_f64 v[72:73], v[30:31], v[2:3]
	v_mul_f64 v[2:3], v[28:29], v[2:3]
	s_waitcnt vmcnt(9) lgkmcnt(3)
	v_mul_f64 v[76:77], v[26:27], v[6:7]
	v_mul_f64 v[6:7], v[24:25], v[6:7]
	;; [unrolled: 3-line block ×3, first 2 shown]
	v_fmac_f64_e32 v[72:73], v[28:29], v[0:1]
	v_fma_f64 v[2:3], v[0:1], v[30:31], -v[2:3]
	v_fmac_f64_e32 v[76:77], v[24:25], v[4:5]
	v_fma_f64 v[6:7], v[4:5], v[26:27], -v[6:7]
	;; [unrolled: 2-line block ×3, first 2 shown]
	v_mul_f64 v[0:1], v[72:73], s[0:1]
	v_mul_f64 v[2:3], v[2:3], s[0:1]
	;; [unrolled: 1-line block ×6, first 2 shown]
	global_store_dwordx4 v[42:43], v[0:3], off
	global_store_dwordx4 v[44:45], v[4:7], off
	;; [unrolled: 1-line block ×3, first 2 shown]
	global_load_dwordx4 v[8:11], v[74:75], off offset:3200
	s_waitcnt vmcnt(11) lgkmcnt(1)
	v_mul_f64 v[0:1], v[34:35], v[14:15]
	v_mul_f64 v[2:3], v[32:33], v[14:15]
	ds_read_b128 v[4:7], v188 offset:5632
	v_fmac_f64_e32 v[0:1], v[32:33], v[12:13]
	v_fma_f64 v[2:3], v[12:13], v[34:35], -v[2:3]
	v_mad_u64_u32 v[24:25], s[4:5], s8, v80, v[46:47]
	v_mul_f64 v[0:1], v[0:1], s[0:1]
	v_mul_f64 v[2:3], v[2:3], s[0:1]
	v_add_u32_e32 v25, s2, v25
	global_store_dwordx4 v[24:25], v[0:3], off
	ds_read_b128 v[0:3], v188 offset:7040
	s_waitcnt vmcnt(11) lgkmcnt(1)
	v_mul_f64 v[12:13], v[6:7], v[18:19]
	v_fmac_f64_e32 v[12:13], v[4:5], v[16:17]
	v_mul_f64 v[4:5], v[4:5], v[18:19]
	v_fma_f64 v[4:5], v[16:17], v[6:7], -v[4:5]
	v_mul_f64 v[14:15], v[4:5], s[0:1]
	s_waitcnt vmcnt(10) lgkmcnt(0)
	v_mul_f64 v[4:5], v[2:3], v[22:23]
	v_fmac_f64_e32 v[4:5], v[0:1], v[20:21]
	v_mul_f64 v[0:1], v[0:1], v[22:23]
	v_mad_u64_u32 v[16:17], s[4:5], s8, v80, v[24:25]
	v_fma_f64 v[0:1], v[20:21], v[2:3], -v[0:1]
	v_mul_f64 v[12:13], v[12:13], s[0:1]
	v_add_u32_e32 v17, s2, v17
	v_mul_f64 v[6:7], v[0:1], s[0:1]
	ds_read_b128 v[0:3], v188 offset:8448
	global_store_dwordx4 v[16:17], v[12:15], off
	v_mad_u64_u32 v[16:17], s[4:5], s8, v80, v[16:17]
	v_mul_f64 v[4:5], v[4:5], s[0:1]
	v_add_u32_e32 v17, s2, v17
	global_store_dwordx4 v[16:17], v[4:7], off
	ds_read_b128 v[4:7], v188 offset:9856
	s_waitcnt vmcnt(11) lgkmcnt(1)
	v_mul_f64 v[12:13], v[2:3], v[54:55]
	v_fmac_f64_e32 v[12:13], v[0:1], v[52:53]
	v_mul_f64 v[0:1], v[0:1], v[54:55]
	v_fma_f64 v[0:1], v[52:53], v[2:3], -v[0:1]
	v_mul_f64 v[14:15], v[0:1], s[0:1]
	v_mad_u64_u32 v[16:17], s[4:5], s8, v80, v[16:17]
	s_waitcnt vmcnt(10) lgkmcnt(0)
	v_mul_f64 v[0:1], v[6:7], v[58:59]
	v_mul_f64 v[2:3], v[4:5], v[58:59]
	;; [unrolled: 1-line block ×3, first 2 shown]
	v_add_u32_e32 v17, s2, v17
	v_fmac_f64_e32 v[0:1], v[4:5], v[56:57]
	v_fma_f64 v[2:3], v[56:57], v[6:7], -v[2:3]
	ds_read_b128 v[4:7], v188 offset:11264
	global_store_dwordx4 v[16:17], v[12:15], off
	v_mad_u64_u32 v[16:17], s[4:5], s8, v80, v[16:17]
	v_mul_f64 v[0:1], v[0:1], s[0:1]
	v_mul_f64 v[2:3], v[2:3], s[0:1]
	v_add_u32_e32 v17, s2, v17
	global_store_dwordx4 v[16:17], v[0:3], off
	ds_read_b128 v[0:3], v188 offset:12672
	s_waitcnt vmcnt(11) lgkmcnt(1)
	v_mul_f64 v[12:13], v[6:7], v[62:63]
	v_fmac_f64_e32 v[12:13], v[4:5], v[60:61]
	v_mul_f64 v[4:5], v[4:5], v[62:63]
	v_fma_f64 v[4:5], v[60:61], v[6:7], -v[4:5]
	v_mul_f64 v[14:15], v[4:5], s[0:1]
	s_waitcnt vmcnt(10) lgkmcnt(0)
	v_mul_f64 v[4:5], v[2:3], v[66:67]
	v_fmac_f64_e32 v[4:5], v[0:1], v[64:65]
	v_mul_f64 v[0:1], v[0:1], v[66:67]
	v_mad_u64_u32 v[16:17], s[4:5], s8, v80, v[16:17]
	v_fma_f64 v[0:1], v[64:65], v[2:3], -v[0:1]
	v_mul_f64 v[12:13], v[12:13], s[0:1]
	v_add_u32_e32 v17, s2, v17
	v_mul_f64 v[6:7], v[0:1], s[0:1]
	ds_read_b128 v[0:3], v188 offset:14080
	global_store_dwordx4 v[16:17], v[12:15], off
	v_mad_u64_u32 v[16:17], s[4:5], s8, v80, v[16:17]
	v_mul_f64 v[4:5], v[4:5], s[0:1]
	v_add_u32_e32 v17, s2, v17
	global_store_dwordx4 v[16:17], v[4:7], off
	ds_read_b128 v[4:7], v188 offset:15488
	s_waitcnt vmcnt(11) lgkmcnt(1)
	v_mul_f64 v[12:13], v[2:3], v[70:71]
	v_fmac_f64_e32 v[12:13], v[0:1], v[68:69]
	v_mul_f64 v[0:1], v[0:1], v[70:71]
	v_fma_f64 v[0:1], v[68:69], v[2:3], -v[0:1]
	v_mad_u64_u32 v[16:17], s[4:5], s8, v80, v[16:17]
	v_mul_f64 v[14:15], v[0:1], s[0:1]
	v_add_u32_e32 v17, s2, v17
	s_waitcnt vmcnt(7) lgkmcnt(0)
	v_mul_f64 v[0:1], v[6:7], v[10:11]
	v_mul_f64 v[2:3], v[4:5], v[10:11]
	v_fmac_f64_e32 v[0:1], v[4:5], v[8:9]
	v_fma_f64 v[2:3], v[8:9], v[6:7], -v[2:3]
	v_mad_u64_u32 v[8:9], s[4:5], s8, v80, v[16:17]
	v_mul_f64 v[12:13], v[12:13], s[0:1]
	v_mul_f64 v[0:1], v[0:1], s[0:1]
	;; [unrolled: 1-line block ×3, first 2 shown]
	v_add_u32_e32 v9, s2, v9
	global_store_dwordx4 v[16:17], v[12:15], off
	global_store_dwordx4 v[8:9], v[0:3], off
	s_nop 1
	v_add_co_u32_e32 v0, vcc, s3, v40
	s_nop 1
	v_addc_co_u32_e32 v1, vcc, 0, v41, vcc
	global_load_dwordx4 v[0:3], v[0:1], off offset:512
	s_waitcnt vmcnt(0)
	v_mul_f64 v[4:5], v[50:51], v[2:3]
	v_mul_f64 v[2:3], v[48:49], v[2:3]
	v_fmac_f64_e32 v[4:5], v[48:49], v[0:1]
	v_fma_f64 v[0:1], v[0:1], v[50:51], -v[2:3]
	v_mul_f64 v[4:5], v[4:5], s[0:1]
	v_mul_f64 v[6:7], v[0:1], s[0:1]
	v_mad_u64_u32 v[0:1], s[0:1], s8, v80, v[8:9]
	v_add_u32_e32 v1, s2, v1
	global_store_dwordx4 v[0:1], v[4:7], off
.LBB0_23:
	s_endpgm
	.section	.rodata,"a",@progbits
	.p2align	6, 0x0
	.amdhsa_kernel bluestein_single_fwd_len1144_dim1_dp_op_CI_CI
		.amdhsa_group_segment_fixed_size 18304
		.amdhsa_private_segment_fixed_size 0
		.amdhsa_kernarg_size 104
		.amdhsa_user_sgpr_count 2
		.amdhsa_user_sgpr_dispatch_ptr 0
		.amdhsa_user_sgpr_queue_ptr 0
		.amdhsa_user_sgpr_kernarg_segment_ptr 1
		.amdhsa_user_sgpr_dispatch_id 0
		.amdhsa_user_sgpr_kernarg_preload_length 0
		.amdhsa_user_sgpr_kernarg_preload_offset 0
		.amdhsa_user_sgpr_private_segment_size 0
		.amdhsa_uses_dynamic_stack 0
		.amdhsa_enable_private_segment 0
		.amdhsa_system_sgpr_workgroup_id_x 1
		.amdhsa_system_sgpr_workgroup_id_y 0
		.amdhsa_system_sgpr_workgroup_id_z 0
		.amdhsa_system_sgpr_workgroup_info 0
		.amdhsa_system_vgpr_workitem_id 0
		.amdhsa_next_free_vgpr 366
		.amdhsa_next_free_sgpr 50
		.amdhsa_accum_offset 256
		.amdhsa_reserve_vcc 1
		.amdhsa_float_round_mode_32 0
		.amdhsa_float_round_mode_16_64 0
		.amdhsa_float_denorm_mode_32 3
		.amdhsa_float_denorm_mode_16_64 3
		.amdhsa_dx10_clamp 1
		.amdhsa_ieee_mode 1
		.amdhsa_fp16_overflow 0
		.amdhsa_tg_split 0
		.amdhsa_exception_fp_ieee_invalid_op 0
		.amdhsa_exception_fp_denorm_src 0
		.amdhsa_exception_fp_ieee_div_zero 0
		.amdhsa_exception_fp_ieee_overflow 0
		.amdhsa_exception_fp_ieee_underflow 0
		.amdhsa_exception_fp_ieee_inexact 0
		.amdhsa_exception_int_div_zero 0
	.end_amdhsa_kernel
	.text
.Lfunc_end0:
	.size	bluestein_single_fwd_len1144_dim1_dp_op_CI_CI, .Lfunc_end0-bluestein_single_fwd_len1144_dim1_dp_op_CI_CI
                                        ; -- End function
	.section	.AMDGPU.csdata,"",@progbits
; Kernel info:
; codeLenInByte = 22116
; NumSgprs: 56
; NumVgprs: 256
; NumAgprs: 110
; TotalNumVgprs: 366
; ScratchSize: 0
; MemoryBound: 0
; FloatMode: 240
; IeeeMode: 1
; LDSByteSize: 18304 bytes/workgroup (compile time only)
; SGPRBlocks: 6
; VGPRBlocks: 45
; NumSGPRsForWavesPerEU: 56
; NumVGPRsForWavesPerEU: 366
; AccumOffset: 256
; Occupancy: 1
; WaveLimiterHint : 1
; COMPUTE_PGM_RSRC2:SCRATCH_EN: 0
; COMPUTE_PGM_RSRC2:USER_SGPR: 2
; COMPUTE_PGM_RSRC2:TRAP_HANDLER: 0
; COMPUTE_PGM_RSRC2:TGID_X_EN: 1
; COMPUTE_PGM_RSRC2:TGID_Y_EN: 0
; COMPUTE_PGM_RSRC2:TGID_Z_EN: 0
; COMPUTE_PGM_RSRC2:TIDIG_COMP_CNT: 0
; COMPUTE_PGM_RSRC3_GFX90A:ACCUM_OFFSET: 63
; COMPUTE_PGM_RSRC3_GFX90A:TG_SPLIT: 0
	.text
	.p2alignl 6, 3212836864
	.fill 256, 4, 3212836864
	.type	__hip_cuid_33b3a1fcba2dc9f3,@object ; @__hip_cuid_33b3a1fcba2dc9f3
	.section	.bss,"aw",@nobits
	.globl	__hip_cuid_33b3a1fcba2dc9f3
__hip_cuid_33b3a1fcba2dc9f3:
	.byte	0                               ; 0x0
	.size	__hip_cuid_33b3a1fcba2dc9f3, 1

	.ident	"AMD clang version 19.0.0git (https://github.com/RadeonOpenCompute/llvm-project roc-6.4.0 25133 c7fe45cf4b819c5991fe208aaa96edf142730f1d)"
	.section	".note.GNU-stack","",@progbits
	.addrsig
	.addrsig_sym __hip_cuid_33b3a1fcba2dc9f3
	.amdgpu_metadata
---
amdhsa.kernels:
  - .agpr_count:     110
    .args:
      - .actual_access:  read_only
        .address_space:  global
        .offset:         0
        .size:           8
        .value_kind:     global_buffer
      - .actual_access:  read_only
        .address_space:  global
        .offset:         8
        .size:           8
        .value_kind:     global_buffer
      - .actual_access:  read_only
        .address_space:  global
        .offset:         16
        .size:           8
        .value_kind:     global_buffer
      - .actual_access:  read_only
        .address_space:  global
        .offset:         24
        .size:           8
        .value_kind:     global_buffer
      - .actual_access:  read_only
        .address_space:  global
        .offset:         32
        .size:           8
        .value_kind:     global_buffer
      - .offset:         40
        .size:           8
        .value_kind:     by_value
      - .address_space:  global
        .offset:         48
        .size:           8
        .value_kind:     global_buffer
      - .address_space:  global
        .offset:         56
        .size:           8
        .value_kind:     global_buffer
      - .address_space:  global
        .offset:         64
        .size:           8
        .value_kind:     global_buffer
      - .address_space:  global
        .offset:         72
        .size:           8
        .value_kind:     global_buffer
      - .offset:         80
        .size:           4
        .value_kind:     by_value
      - .address_space:  global
        .offset:         88
        .size:           8
        .value_kind:     global_buffer
      - .address_space:  global
        .offset:         96
        .size:           8
        .value_kind:     global_buffer
    .group_segment_fixed_size: 18304
    .kernarg_segment_align: 8
    .kernarg_segment_size: 104
    .language:       OpenCL C
    .language_version:
      - 2
      - 0
    .max_flat_workgroup_size: 104
    .name:           bluestein_single_fwd_len1144_dim1_dp_op_CI_CI
    .private_segment_fixed_size: 0
    .sgpr_count:     56
    .sgpr_spill_count: 0
    .symbol:         bluestein_single_fwd_len1144_dim1_dp_op_CI_CI.kd
    .uniform_work_group_size: 1
    .uses_dynamic_stack: false
    .vgpr_count:     366
    .vgpr_spill_count: 0
    .wavefront_size: 64
amdhsa.target:   amdgcn-amd-amdhsa--gfx950
amdhsa.version:
  - 1
  - 2
...

	.end_amdgpu_metadata
